;; amdgpu-corpus repo=zjin-lcf/HeCBench kind=compiled arch=gfx90a opt=O3
	.text
	.amdgcn_target "amdgcn-amd-amdhsa--gfx90a"
	.amdhsa_code_object_version 6
	.protected	_Z18reduce_card_devicePii ; -- Begin function _Z18reduce_card_devicePii
	.globl	_Z18reduce_card_devicePii
	.p2align	8
	.type	_Z18reduce_card_devicePii,@function
_Z18reduce_card_devicePii:              ; @_Z18reduce_card_devicePii
; %bb.0:
	s_load_dword s2, s[4:5], 0x8
	s_load_dwordx2 s[0:1], s[4:5], 0x0
	s_waitcnt lgkmcnt(0)
	s_cmp_lt_i32 s2, 1
	s_cbranch_scc1 .LBB0_5
; %bb.1:
	s_lshl_b32 s6, s2, 1
	s_add_u32 s2, s0, 4
	s_addc_u32 s3, s1, 0
	s_mov_b32 s4, -1
	s_mov_b32 s7, 0
                                        ; implicit-def: $sgpr5
	s_branch .LBB0_3
.LBB0_2:                                ;   in Loop: Header=BB0_3 Depth=1
	s_add_i32 s7, s7, 2
	s_add_u32 s2, s2, 8
	s_addc_u32 s3, s3, 0
	s_cmp_lt_i32 s7, s6
	s_cbranch_scc0 .LBB0_6
.LBB0_3:                                ; =>This Inner Loop Header: Depth=1
	s_add_u32 s8, s2, -4
	s_addc_u32 s9, s3, -1
	s_load_dword s8, s[8:9], 0x0
	s_waitcnt lgkmcnt(0)
	s_cmp_le_i32 s8, s4
	s_cbranch_scc1 .LBB0_2
; %bb.4:                                ;   in Loop: Header=BB0_3 Depth=1
	s_load_dword s5, s[2:3], 0x0
	s_mov_b32 s4, s8
	s_branch .LBB0_2
.LBB0_5:
	s_mov_b32 s4, -1
                                        ; implicit-def: $sgpr5
.LBB0_6:
	v_mov_b32_e32 v0, s4
	s_waitcnt lgkmcnt(0)
	v_mov_b32_e32 v1, s5
	v_mov_b32_e32 v2, 0
	global_store_dwordx2 v2, v[0:1], s[0:1]
	s_endpgm
	.section	.rodata,"a",@progbits
	.p2align	6, 0x0
	.amdhsa_kernel _Z18reduce_card_devicePii
		.amdhsa_group_segment_fixed_size 0
		.amdhsa_private_segment_fixed_size 0
		.amdhsa_kernarg_size 12
		.amdhsa_user_sgpr_count 6
		.amdhsa_user_sgpr_private_segment_buffer 1
		.amdhsa_user_sgpr_dispatch_ptr 0
		.amdhsa_user_sgpr_queue_ptr 0
		.amdhsa_user_sgpr_kernarg_segment_ptr 1
		.amdhsa_user_sgpr_dispatch_id 0
		.amdhsa_user_sgpr_flat_scratch_init 0
		.amdhsa_user_sgpr_kernarg_preload_length 0
		.amdhsa_user_sgpr_kernarg_preload_offset 0
		.amdhsa_user_sgpr_private_segment_size 0
		.amdhsa_uses_dynamic_stack 0
		.amdhsa_system_sgpr_private_segment_wavefront_offset 0
		.amdhsa_system_sgpr_workgroup_id_x 1
		.amdhsa_system_sgpr_workgroup_id_y 0
		.amdhsa_system_sgpr_workgroup_id_z 0
		.amdhsa_system_sgpr_workgroup_info 0
		.amdhsa_system_vgpr_workitem_id 0
		.amdhsa_next_free_vgpr 3
		.amdhsa_next_free_sgpr 10
		.amdhsa_accum_offset 4
		.amdhsa_reserve_vcc 0
		.amdhsa_reserve_flat_scratch 0
		.amdhsa_float_round_mode_32 0
		.amdhsa_float_round_mode_16_64 0
		.amdhsa_float_denorm_mode_32 3
		.amdhsa_float_denorm_mode_16_64 3
		.amdhsa_dx10_clamp 1
		.amdhsa_ieee_mode 1
		.amdhsa_fp16_overflow 0
		.amdhsa_tg_split 0
		.amdhsa_exception_fp_ieee_invalid_op 0
		.amdhsa_exception_fp_denorm_src 0
		.amdhsa_exception_fp_ieee_div_zero 0
		.amdhsa_exception_fp_ieee_overflow 0
		.amdhsa_exception_fp_ieee_underflow 0
		.amdhsa_exception_fp_ieee_inexact 0
		.amdhsa_exception_int_div_zero 0
	.end_amdhsa_kernel
	.text
.Lfunc_end0:
	.size	_Z18reduce_card_devicePii, .Lfunc_end0-_Z18reduce_card_devicePii
                                        ; -- End function
	.section	.AMDGPU.csdata,"",@progbits
; Kernel info:
; codeLenInByte = 148
; NumSgprs: 14
; NumVgprs: 3
; NumAgprs: 0
; TotalNumVgprs: 3
; ScratchSize: 0
; MemoryBound: 0
; FloatMode: 240
; IeeeMode: 1
; LDSByteSize: 0 bytes/workgroup (compile time only)
; SGPRBlocks: 1
; VGPRBlocks: 0
; NumSGPRsForWavesPerEU: 14
; NumVGPRsForWavesPerEU: 3
; AccumOffset: 4
; Occupancy: 8
; WaveLimiterHint : 0
; COMPUTE_PGM_RSRC2:SCRATCH_EN: 0
; COMPUTE_PGM_RSRC2:USER_SGPR: 6
; COMPUTE_PGM_RSRC2:TRAP_HANDLER: 0
; COMPUTE_PGM_RSRC2:TGID_X_EN: 1
; COMPUTE_PGM_RSRC2:TGID_Y_EN: 0
; COMPUTE_PGM_RSRC2:TGID_Z_EN: 0
; COMPUTE_PGM_RSRC2:TIDIG_COMP_CNT: 0
; COMPUTE_PGM_RSRC3_GFX90A:ACCUM_OFFSET: 0
; COMPUTE_PGM_RSRC3_GFX90A:TG_SPLIT: 0
	.text
	.protected	_Z15compute_degreesPiS_ii ; -- Begin function _Z15compute_degreesPiS_ii
	.globl	_Z15compute_degreesPiS_ii
	.p2align	8
	.type	_Z15compute_degreesPiS_ii,@function
_Z15compute_degreesPiS_ii:              ; @_Z15compute_degreesPiS_ii
; %bb.0:
	s_load_dword s2, s[4:5], 0x18
	s_load_dwordx2 s[8:9], s[4:5], 0x10
	s_add_u32 s0, s4, 24
	s_addc_u32 s1, s5, 0
	s_mov_b32 s12, 0
	s_waitcnt lgkmcnt(0)
	s_abs_i32 s3, s2
	v_cvt_f32_u32_e32 v1, s3
	s_sub_i32 s10, 0, s3
	s_add_i32 s7, s8, s2
	s_add_i32 s7, s7, -1
	v_rcp_iflag_f32_e32 v1, v1
	s_xor_b32 s2, s7, s2
	s_abs_i32 s7, s7
	s_ashr_i32 s2, s2, 31
	v_mul_f32_e32 v1, 0x4f7ffffe, v1
	v_cvt_u32_f32_e32 v1, v1
	v_readfirstlane_b32 s11, v1
	s_mul_i32 s10, s10, s11
	s_mul_hi_u32 s10, s11, s10
	s_add_i32 s11, s11, s10
	s_mul_hi_u32 s10, s7, s11
	s_mul_i32 s11, s10, s3
	s_sub_i32 s7, s7, s11
	s_add_i32 s13, s10, 1
	s_sub_i32 s11, s7, s3
	s_cmp_ge_u32 s7, s3
	s_cselect_b32 s10, s13, s10
	s_cselect_b32 s7, s11, s7
	s_add_i32 s11, s10, 1
	s_cmp_ge_u32 s7, s3
	s_cselect_b32 s3, s11, s10
	s_xor_b32 s3, s3, s2
	s_sub_i32 s3, s3, s2
	s_mul_i32 s2, s3, s6
	s_sub_i32 s7, s8, s2
	s_add_i32 s6, s2, s3
	s_max_i32 s7, s7, 0
	s_cmp_gt_i32 s6, s8
	s_cselect_b32 s8, s7, s3
	v_cmp_gt_i32_e32 vcc, s8, v0
	s_and_saveexec_b64 s[6:7], vcc
	s_cbranch_execz .LBB1_11
; %bb.1:
	s_load_dword s6, s[0:1], 0xc
	s_load_dwordx4 s[16:19], s[4:5], 0x0
	s_mul_i32 s0, s2, s9
	s_ashr_i32 s3, s2, 31
	s_ashr_i32 s1, s0, 31
	s_waitcnt lgkmcnt(0)
	s_and_b32 s13, s6, 0xffff
	s_lshl_b64 s[2:3], s[2:3], 2
	s_add_u32 s14, s18, s2
	s_addc_u32 s19, s19, s3
	s_cmp_gt_i32 s9, 0
	s_cselect_b64 s[2:3], -1, 0
	s_cmp_lg_u32 s9, 1
	s_cselect_b64 s[10:11], -1, 0
	s_and_b32 s15, s9, 0x7ffffffe
	s_cmp_lg_u32 s15, s9
	s_cselect_b64 s[4:5], -1, 0
	s_lshl_b64 s[0:1], s[0:1], 2
	s_add_u32 s16, s16, s0
	v_cndmask_b32_e64 v1, 0, 1, s[2:3]
	s_addc_u32 s17, s17, s1
	v_cmp_ne_u32_e64 s[0:1], 1, v1
	v_cndmask_b32_e64 v1, 0, 1, s[10:11]
	v_mul_lo_u32 v2, v0, s9
	s_mul_i32 s18, s9, s13
	s_mov_b64 s[6:7], 0
	v_mov_b32_e32 v3, 0
	v_cmp_ne_u32_e64 s[2:3], 1, v1
	v_mov_b32_e32 v1, s19
	s_branch .LBB1_3
.LBB1_2:                                ;   in Loop: Header=BB1_3 Depth=1
	v_add_u32_e32 v4, s12, v0
	v_mov_b32_e32 v5, v3
	v_lshlrev_b64 v[4:5], 2, v[4:5]
	v_add_co_u32_e32 v4, vcc, s14, v4
	v_addc_co_u32_e32 v5, vcc, v1, v5, vcc
	s_add_i32 s12, s12, s13
	global_store_dword v[4:5], v6, off
	v_add_u32_e32 v4, s12, v0
	v_cmp_le_i32_e32 vcc, s8, v4
	s_or_b64 s[6:7], vcc, s[6:7]
	v_add_u32_e32 v2, s18, v2
	s_andn2_b64 exec, exec, s[6:7]
	s_cbranch_execz .LBB1_11
.LBB1_3:                                ; =>This Loop Header: Depth=1
                                        ;     Child Loop BB1_6 Depth 2
                                        ;     Child Loop BB1_10 Depth 2
	s_and_b64 vcc, exec, s[0:1]
	v_mov_b32_e32 v6, v3
	s_cbranch_vccnz .LBB1_2
; %bb.4:                                ;   in Loop: Header=BB1_3 Depth=1
	s_mov_b32 s19, 0
	s_and_b64 vcc, exec, s[2:3]
	v_mov_b32_e32 v6, 0
	s_cbranch_vccnz .LBB1_8
; %bb.5:                                ;   in Loop: Header=BB1_3 Depth=1
	v_lshlrev_b64 v[4:5], 2, v[2:3]
	v_mov_b32_e32 v6, s17
	v_add_co_u32_e32 v4, vcc, s16, v4
	v_addc_co_u32_e32 v5, vcc, v6, v5, vcc
	v_mov_b32_e32 v6, 0
	s_mov_b32 s10, s15
	v_mov_b32_e32 v7, 0
.LBB1_6:                                ;   Parent Loop BB1_3 Depth=1
                                        ; =>  This Inner Loop Header: Depth=2
	global_load_dwordx2 v[8:9], v[4:5], off
	v_add_co_u32_e32 v4, vcc, 8, v4
	s_add_i32 s10, s10, -2
	v_addc_co_u32_e32 v5, vcc, 0, v5, vcc
	s_cmp_lg_u32 s10, 0
	s_waitcnt vmcnt(0)
	v_not_b32_e32 v8, v8
	v_not_b32_e32 v9, v9
	v_lshrrev_b32_e32 v8, 31, v8
	v_lshrrev_b32_e32 v9, 31, v9
	v_add_u32_e32 v7, v7, v9
	v_add_u32_e32 v6, v6, v8
	s_cbranch_scc1 .LBB1_6
; %bb.7:                                ;   in Loop: Header=BB1_3 Depth=1
	v_add_u32_e32 v6, v6, v7
	s_mov_b32 s19, s15
	s_mov_b64 s[10:11], s[4:5]
	s_and_b64 vcc, exec, s[10:11]
	s_cbranch_vccz .LBB1_2
	s_branch .LBB1_9
.LBB1_8:                                ;   in Loop: Header=BB1_3 Depth=1
	s_cbranch_execz .LBB1_2
.LBB1_9:                                ;   in Loop: Header=BB1_3 Depth=1
	v_add_co_u32_e32 v4, vcc, s19, v2
	v_addc_co_u32_e64 v5, s[20:21], 0, 0, vcc
	v_lshlrev_b64 v[4:5], 2, v[4:5]
	v_mov_b32_e32 v7, s17
	v_add_co_u32_e32 v4, vcc, s16, v4
	s_sub_i32 s10, s9, s19
	v_addc_co_u32_e32 v5, vcc, v7, v5, vcc
.LBB1_10:                               ;   Parent Loop BB1_3 Depth=1
                                        ; =>  This Inner Loop Header: Depth=2
	global_load_dword v7, v[4:5], off
	s_add_i32 s10, s10, -1
	v_add_co_u32_e32 v4, vcc, 4, v4
	v_addc_co_u32_e32 v5, vcc, 0, v5, vcc
	s_cmp_eq_u32 s10, 0
	s_waitcnt vmcnt(0)
	v_not_b32_e32 v7, v7
	v_lshrrev_b32_e32 v7, 31, v7
	v_add_u32_e32 v6, v6, v7
	s_cbranch_scc0 .LBB1_10
	s_branch .LBB1_2
.LBB1_11:
	s_endpgm
	.section	.rodata,"a",@progbits
	.p2align	6, 0x0
	.amdhsa_kernel _Z15compute_degreesPiS_ii
		.amdhsa_group_segment_fixed_size 0
		.amdhsa_private_segment_fixed_size 0
		.amdhsa_kernarg_size 280
		.amdhsa_user_sgpr_count 6
		.amdhsa_user_sgpr_private_segment_buffer 1
		.amdhsa_user_sgpr_dispatch_ptr 0
		.amdhsa_user_sgpr_queue_ptr 0
		.amdhsa_user_sgpr_kernarg_segment_ptr 1
		.amdhsa_user_sgpr_dispatch_id 0
		.amdhsa_user_sgpr_flat_scratch_init 0
		.amdhsa_user_sgpr_kernarg_preload_length 0
		.amdhsa_user_sgpr_kernarg_preload_offset 0
		.amdhsa_user_sgpr_private_segment_size 0
		.amdhsa_uses_dynamic_stack 0
		.amdhsa_system_sgpr_private_segment_wavefront_offset 0
		.amdhsa_system_sgpr_workgroup_id_x 1
		.amdhsa_system_sgpr_workgroup_id_y 0
		.amdhsa_system_sgpr_workgroup_id_z 0
		.amdhsa_system_sgpr_workgroup_info 0
		.amdhsa_system_vgpr_workitem_id 0
		.amdhsa_next_free_vgpr 10
		.amdhsa_next_free_sgpr 22
		.amdhsa_accum_offset 12
		.amdhsa_reserve_vcc 1
		.amdhsa_reserve_flat_scratch 0
		.amdhsa_float_round_mode_32 0
		.amdhsa_float_round_mode_16_64 0
		.amdhsa_float_denorm_mode_32 3
		.amdhsa_float_denorm_mode_16_64 3
		.amdhsa_dx10_clamp 1
		.amdhsa_ieee_mode 1
		.amdhsa_fp16_overflow 0
		.amdhsa_tg_split 0
		.amdhsa_exception_fp_ieee_invalid_op 0
		.amdhsa_exception_fp_denorm_src 0
		.amdhsa_exception_fp_ieee_div_zero 0
		.amdhsa_exception_fp_ieee_overflow 0
		.amdhsa_exception_fp_ieee_underflow 0
		.amdhsa_exception_fp_ieee_inexact 0
		.amdhsa_exception_int_div_zero 0
	.end_amdhsa_kernel
	.text
.Lfunc_end1:
	.size	_Z15compute_degreesPiS_ii, .Lfunc_end1-_Z15compute_degreesPiS_ii
                                        ; -- End function
	.section	.AMDGPU.csdata,"",@progbits
; Kernel info:
; codeLenInByte = 632
; NumSgprs: 26
; NumVgprs: 10
; NumAgprs: 0
; TotalNumVgprs: 10
; ScratchSize: 0
; MemoryBound: 0
; FloatMode: 240
; IeeeMode: 1
; LDSByteSize: 0 bytes/workgroup (compile time only)
; SGPRBlocks: 3
; VGPRBlocks: 1
; NumSGPRsForWavesPerEU: 26
; NumVGPRsForWavesPerEU: 10
; AccumOffset: 12
; Occupancy: 8
; WaveLimiterHint : 0
; COMPUTE_PGM_RSRC2:SCRATCH_EN: 0
; COMPUTE_PGM_RSRC2:USER_SGPR: 6
; COMPUTE_PGM_RSRC2:TRAP_HANDLER: 0
; COMPUTE_PGM_RSRC2:TGID_X_EN: 1
; COMPUTE_PGM_RSRC2:TGID_Y_EN: 0
; COMPUTE_PGM_RSRC2:TGID_Z_EN: 0
; COMPUTE_PGM_RSRC2:TIDIG_COMP_CNT: 0
; COMPUTE_PGM_RSRC3_GFX90A:ACCUM_OFFSET: 2
; COMPUTE_PGM_RSRC3_GFX90A:TG_SPLIT: 0
	.text
	.protected	_Z26update_clustered_pnts_maskPcS_i ; -- Begin function _Z26update_clustered_pnts_maskPcS_i
	.globl	_Z26update_clustered_pnts_maskPcS_i
	.p2align	8
	.type	_Z26update_clustered_pnts_maskPcS_i,@function
_Z26update_clustered_pnts_maskPcS_i:    ; @_Z26update_clustered_pnts_maskPcS_i
; %bb.0:
	s_load_dword s8, s[4:5], 0x10
	s_waitcnt lgkmcnt(0)
	v_cmp_gt_i32_e32 vcc, s8, v0
	s_and_saveexec_b64 s[2:3], vcc
	s_cbranch_execz .LBB2_3
; %bb.1:
	s_load_dwordx2 s[0:1], s[4:5], 0x24
	s_load_dwordx4 s[12:15], s[4:5], 0x0
	s_mov_b64 s[6:7], 0
	s_waitcnt lgkmcnt(0)
	s_lshr_b32 s4, s0, 16
	s_and_b32 s0, s0, 0xffff
	v_mov_b32_e32 v2, s15
	v_add_co_u32_e32 v1, vcc, s14, v0
	s_and_b32 s1, s1, 0xffff
	s_mul_i32 s0, s4, s0
	v_addc_co_u32_e32 v2, vcc, 0, v2, vcc
	s_mul_i32 s9, s0, s1
	v_mov_b32_e32 v4, s13
	v_add_co_u32_e32 v3, vcc, s12, v0
	s_ashr_i32 s10, s9, 31
	v_addc_co_u32_e32 v4, vcc, 0, v4, vcc
	s_mov_b64 s[4:5], 0
.LBB2_2:                                ; =>This Inner Loop Header: Depth=1
	v_mov_b32_e32 v5, s7
	v_add_co_u32_e64 v8, s[0:1], s6, v1
	v_add_co_u32_e32 v6, vcc, s6, v3
	v_addc_co_u32_e64 v9, s[0:1], v2, v5, s[0:1]
	v_addc_co_u32_e32 v7, vcc, v4, v5, vcc
	global_load_ubyte v5, v[8:9], off
	global_load_ubyte v10, v[6:7], off
	s_add_u32 s6, s6, s9
	v_add_u32_e32 v8, s6, v0
	s_addc_u32 s7, s7, s10
	v_cmp_le_i32_e32 vcc, s8, v8
	s_or_b64 s[4:5], vcc, s[4:5]
	s_waitcnt vmcnt(0)
	v_or_b32_e32 v5, v10, v5
	global_store_byte v[6:7], v5, off
	s_andn2_b64 exec, exec, s[4:5]
	s_cbranch_execnz .LBB2_2
.LBB2_3:
	s_or_b64 exec, exec, s[2:3]
	s_barrier
	s_endpgm
	.section	.rodata,"a",@progbits
	.p2align	6, 0x0
	.amdhsa_kernel _Z26update_clustered_pnts_maskPcS_i
		.amdhsa_group_segment_fixed_size 0
		.amdhsa_private_segment_fixed_size 0
		.amdhsa_kernarg_size 280
		.amdhsa_user_sgpr_count 6
		.amdhsa_user_sgpr_private_segment_buffer 1
		.amdhsa_user_sgpr_dispatch_ptr 0
		.amdhsa_user_sgpr_queue_ptr 0
		.amdhsa_user_sgpr_kernarg_segment_ptr 1
		.amdhsa_user_sgpr_dispatch_id 0
		.amdhsa_user_sgpr_flat_scratch_init 0
		.amdhsa_user_sgpr_kernarg_preload_length 0
		.amdhsa_user_sgpr_kernarg_preload_offset 0
		.amdhsa_user_sgpr_private_segment_size 0
		.amdhsa_uses_dynamic_stack 0
		.amdhsa_system_sgpr_private_segment_wavefront_offset 0
		.amdhsa_system_sgpr_workgroup_id_x 1
		.amdhsa_system_sgpr_workgroup_id_y 0
		.amdhsa_system_sgpr_workgroup_id_z 0
		.amdhsa_system_sgpr_workgroup_info 0
		.amdhsa_system_vgpr_workitem_id 0
		.amdhsa_next_free_vgpr 11
		.amdhsa_next_free_sgpr 16
		.amdhsa_accum_offset 12
		.amdhsa_reserve_vcc 1
		.amdhsa_reserve_flat_scratch 0
		.amdhsa_float_round_mode_32 0
		.amdhsa_float_round_mode_16_64 0
		.amdhsa_float_denorm_mode_32 3
		.amdhsa_float_denorm_mode_16_64 3
		.amdhsa_dx10_clamp 1
		.amdhsa_ieee_mode 1
		.amdhsa_fp16_overflow 0
		.amdhsa_tg_split 0
		.amdhsa_exception_fp_ieee_invalid_op 0
		.amdhsa_exception_fp_denorm_src 0
		.amdhsa_exception_fp_ieee_div_zero 0
		.amdhsa_exception_fp_ieee_overflow 0
		.amdhsa_exception_fp_ieee_underflow 0
		.amdhsa_exception_fp_ieee_inexact 0
		.amdhsa_exception_int_div_zero 0
	.end_amdhsa_kernel
	.text
.Lfunc_end2:
	.size	_Z26update_clustered_pnts_maskPcS_i, .Lfunc_end2-_Z26update_clustered_pnts_maskPcS_i
                                        ; -- End function
	.section	.AMDGPU.csdata,"",@progbits
; Kernel info:
; codeLenInByte = 208
; NumSgprs: 20
; NumVgprs: 11
; NumAgprs: 0
; TotalNumVgprs: 11
; ScratchSize: 0
; MemoryBound: 0
; FloatMode: 240
; IeeeMode: 1
; LDSByteSize: 0 bytes/workgroup (compile time only)
; SGPRBlocks: 2
; VGPRBlocks: 1
; NumSGPRsForWavesPerEU: 20
; NumVGPRsForWavesPerEU: 11
; AccumOffset: 12
; Occupancy: 8
; WaveLimiterHint : 0
; COMPUTE_PGM_RSRC2:SCRATCH_EN: 0
; COMPUTE_PGM_RSRC2:USER_SGPR: 6
; COMPUTE_PGM_RSRC2:TRAP_HANDLER: 0
; COMPUTE_PGM_RSRC2:TGID_X_EN: 1
; COMPUTE_PGM_RSRC2:TGID_Y_EN: 0
; COMPUTE_PGM_RSRC2:TGID_Z_EN: 0
; COMPUTE_PGM_RSRC2:TIDIG_COMP_CNT: 0
; COMPUTE_PGM_RSRC3_GFX90A:ACCUM_OFFSET: 2
; COMPUTE_PGM_RSRC3_GFX90A:TG_SPLIT: 0
	.text
	.p2align	2                               ; -- Begin function _Z42generate_candidate_cluster_compact_storageiiPcPfS_PiS0_iiiS1_f
	.type	_Z42generate_candidate_cluster_compact_storageiiPcPfS_PiS0_iiiS1_f,@function
_Z42generate_candidate_cluster_compact_storageiiPcPfS_PiS0_iiiS1_f: ; @_Z42generate_candidate_cluster_compact_storageiiPcPfS_PiS0_iiiS1_f
; %bb.0:
	s_waitcnt vmcnt(0) expcnt(0) lgkmcnt(0)
	s_or_saveexec_b64 s[4:5], -1
	buffer_store_dword v63, off, s[0:3], s32 offset:4 ; 4-byte Folded Spill
	buffer_store_dword v62, off, s[0:3], s32 offset:8 ; 4-byte Folded Spill
	s_mov_b64 exec, s[4:5]
	v_accvgpr_write_b32 a5, v40             ;  Reload Reuse
	v_accvgpr_write_b32 a20, v41            ;  Reload Reuse
	v_accvgpr_write_b32 a21, v42            ;  Reload Reuse
	v_accvgpr_write_b32 a22, v43            ;  Reload Reuse
	v_accvgpr_write_b32 a23, v44            ;  Reload Reuse
	v_accvgpr_write_b32 a24, v45            ;  Reload Reuse
	v_accvgpr_write_b32 a25, v46            ;  Reload Reuse
	v_accvgpr_write_b32 a26, v47            ;  Reload Reuse
	v_accvgpr_write_b32 a27, v56            ;  Reload Reuse
	v_accvgpr_write_b32 a28, v57            ;  Reload Reuse
	v_accvgpr_write_b32 a29, v58            ;  Reload Reuse
	v_accvgpr_write_b32 a30, v59            ;  Reload Reuse
	v_accvgpr_write_b32 a31, v60            ;  Reload Reuse
	buffer_store_dword v61, off, s[0:3], s32 ; 4-byte Folded Spill
	v_writelane_b32 v63, s34, 0
	v_writelane_b32 v63, s35, 1
	;; [unrolled: 1-line block ×35, first 2 shown]
	s_load_dwordx2 s[4:5], s[8:9], 0x0
	s_load_dword s10, s[8:9], 0x8
	v_mov_b32_e32 v20, 0
	s_waitcnt lgkmcnt(0)
	s_cmp_lt_u32 s13, s5
	s_cselect_b32 s6, 14, 20
	s_cmp_lt_u32 s12, s4
	s_cselect_b32 s4, 12, 18
	s_add_u32 s4, s8, s4
	s_addc_u32 s5, s9, 0
	s_add_u32 s6, s8, s6
	s_addc_u32 s7, s9, 0
	s_cmp_lt_u32 s14, s10
	s_cselect_b32 s10, 16, 22
	global_load_ushort v17, v20, s[4:5]
	global_load_ushort v18, v20, s[6:7]
	s_add_u32 s4, s8, s10
	s_addc_u32 s5, s9, 0
	global_load_ushort v19, v20, s[4:5]
	s_waitcnt vmcnt(2)
	v_readfirstlane_b32 s5, v17
	s_waitcnt vmcnt(1)
	v_readfirstlane_b32 s4, v18
	s_mul_i32 s4, s4, s5
	v_and_b32_e32 v18, 0x3ff, v31
	s_waitcnt vmcnt(0)
	v_readfirstlane_b32 s5, v19
	s_mul_i32 s14, s4, s5
	v_cvt_f32_u32_e32 v17, s14
	v_cmp_lt_i32_e32 vcc, v18, v12
	v_add_u32_e32 v25, s14, v18
	v_rcp_iflag_f32_e32 v26, v17
	s_and_saveexec_b64 s[6:7], vcc
	s_cbranch_execz .LBB3_8
; %bb.1:
	v_mul_f32_e32 v21, 0x4f7ffffe, v26
	v_cvt_u32_f32_e32 v21, v21
	v_mov_b32_e32 v19, s14
	v_cmp_lt_i32_e32 vcc, v25, v12
	v_addc_co_u32_e64 v19, s[4:5], v18, v19, vcc
	v_max_i32_e32 v17, v12, v25
	s_sub_i32 s4, 0, s14
	v_sub_u32_e32 v17, v17, v19
	v_mul_lo_u32 v19, s4, v21
	v_mul_hi_u32 v19, v21, v19
	v_add_u32_e32 v19, v21, v19
	v_mul_hi_u32 v19, v17, v19
	v_mul_lo_u32 v21, v19, s14
	v_sub_u32_e32 v17, v17, v21
	v_add_u32_e32 v21, 1, v19
	v_cmp_le_u32_e64 s[4:5], s14, v17
	v_cndmask_b32_e64 v19, v19, v21, s[4:5]
	v_subrev_u32_e32 v21, s14, v17
	v_cndmask_b32_e64 v17, v17, v21, s[4:5]
	v_add_u32_e32 v21, 1, v19
	v_cmp_le_u32_e64 s[4:5], s14, v17
	v_cndmask_b32_e64 v17, v19, v21, s[4:5]
	v_addc_co_u32_e32 v27, vcc, 1, v17, vcc
	v_cmp_lt_u32_e32 vcc, 7, v27
	s_mov_b64 s[8:9], -1
	s_and_saveexec_b64 s[4:5], vcc
	s_cbranch_execz .LBB3_5
; %bb.2:
	v_and_b32_e32 v28, -8, v27
	s_lshl_b32 s19, s14, 3
	s_mul_i32 s10, s14, 7
	s_mul_i32 s11, s14, 6
	;; [unrolled: 1-line block ×3, first 2 shown]
	s_lshl_b32 s13, s14, 2
	s_mul_i32 s15, s14, 3
	s_lshl_b32 s16, s14, 1
	s_mov_b32 s17, 0
	s_mov_b32 s18, s14
	;; [unrolled: 1-line block ×9, first 2 shown]
	v_mov_b32_e32 v17, v18
	v_mov_b32_e32 v20, v18
	;; [unrolled: 1-line block ×6, first 2 shown]
	s_mov_b64 s[8:9], 0
	v_mov_b32_e32 v29, 0
	v_mov_b32_e32 v30, v28
	;; [unrolled: 1-line block ×3, first 2 shown]
.LBB3_3:                                ; =>This Inner Loop Header: Depth=1
	v_add_u32_e32 v31, s17, v18
	v_ashrrev_i32_e32 v33, 31, v31
	v_add_co_u32_e32 v32, vcc, v1, v31
	v_addc_co_u32_e32 v33, vcc, v2, v33, vcc
	v_add_u32_e32 v31, s18, v17
	flat_store_byte v[32:33], v29
	v_ashrrev_i32_e32 v33, 31, v31
	v_add_co_u32_e32 v32, vcc, v1, v31
	v_addc_co_u32_e32 v33, vcc, v2, v33, vcc
	v_add_u32_e32 v31, s16, v20
	flat_store_byte v[32:33], v29
	;; [unrolled: 5-line block ×7, first 2 shown]
	v_ashrrev_i32_e32 v33, 31, v31
	v_add_co_u32_e32 v32, vcc, v1, v31
	v_addc_co_u32_e32 v33, vcc, v2, v33, vcc
	v_add_u32_e32 v30, -8, v30
	s_add_i32 s10, s10, s26
	s_add_i32 s11, s11, s25
	;; [unrolled: 1-line block ×8, first 2 shown]
	v_cmp_eq_u32_e32 vcc, 0, v30
	s_or_b64 s[8:9], vcc, s[8:9]
	flat_store_byte v[32:33], v29
	s_andn2_b64 exec, exec, s[8:9]
	s_cbranch_execnz .LBB3_3
; %bb.4:
	s_or_b64 exec, exec, s[8:9]
	v_cmp_ne_u32_e32 vcc, v27, v28
	v_mul_lo_u32 v20, v28, s14
	s_orn2_b64 s[8:9], vcc, exec
.LBB3_5:
	s_or_b64 exec, exec, s[4:5]
	s_and_b64 exec, exec, s[8:9]
	s_cbranch_execz .LBB3_8
; %bb.6:
	v_add_co_u32_e32 v21, vcc, v1, v18
	s_ashr_i32 s8, s14, 31
	v_mov_b32_e32 v19, 0
	v_addc_co_u32_e32 v22, vcc, 0, v2, vcc
	v_ashrrev_i32_e32 v17, 31, v20
	s_mov_b64 s[4:5], 0
	v_mov_b32_e32 v23, s8
.LBB3_7:                                ; =>This Inner Loop Header: Depth=1
	v_add_co_u32_e32 v28, vcc, v21, v20
	v_addc_co_u32_e32 v29, vcc, v22, v17, vcc
	v_add_co_u32_e32 v20, vcc, s14, v20
	v_addc_co_u32_e32 v17, vcc, v17, v23, vcc
	v_add_u32_e32 v24, v18, v20
	v_cmp_ge_i32_e32 vcc, v24, v12
	s_or_b64 s[4:5], vcc, s[4:5]
	flat_store_byte v[28:29], v19
	s_andn2_b64 exec, exec, s[4:5]
	s_cbranch_execnz .LBB3_7
.LBB3_8:
	s_or_b64 exec, exec, s[6:7]
	v_cmp_lt_i32_e32 vcc, v18, v13
	s_and_saveexec_b64 s[8:9], vcc
	s_cbranch_execz .LBB3_16
; %bb.9:
	v_mul_f32_e32 v19, 0x4f7ffffe, v26
	v_cvt_u32_f32_e32 v19, v19
	v_mov_b32_e32 v17, s14
	v_cmp_lt_i32_e64 s[4:5], v25, v13
	v_addc_co_u32_e64 v17, s[6:7], v18, v17, s[4:5]
	v_max_i32_e32 v12, v13, v25
	s_sub_i32 s6, 0, s14
	v_sub_u32_e32 v12, v12, v17
	v_mul_lo_u32 v17, s6, v19
	v_mul_hi_u32 v17, v19, v17
	v_add_u32_e32 v17, v19, v17
	v_mul_hi_u32 v17, v12, v17
	v_mul_lo_u32 v19, v17, s14
	v_sub_u32_e32 v12, v12, v19
	v_add_u32_e32 v19, 1, v17
	v_cmp_le_u32_e64 s[6:7], s14, v12
	v_cndmask_b32_e64 v17, v17, v19, s[6:7]
	v_subrev_u32_e32 v19, s14, v12
	v_cndmask_b32_e64 v12, v12, v19, s[6:7]
	v_add_u32_e32 v19, 1, v17
	v_cmp_le_u32_e64 s[6:7], s14, v12
	v_cndmask_b32_e64 v12, v17, v19, s[6:7]
	v_addc_co_u32_e64 v12, s[4:5], 1, v12, s[4:5]
	s_mov_b32 s12, 0
	v_cmp_lt_u32_e64 s[4:5], 1, v12
	s_mov_b64 s[10:11], -1
	v_mov_b32_e32 v17, 0
	s_and_saveexec_b64 s[6:7], s[4:5]
	s_cbranch_execz .LBB3_13
; %bb.10:
	v_and_b32_e32 v19, -2, v12
	s_lshl_b32 s15, s14, 1
	s_mov_b32 s13, s14
	s_mov_b32 s16, s15
	v_mov_b32_e32 v17, v18
	s_mov_b64 s[10:11], 0
	v_mov_b32_e32 v20, 0
	v_mov_b32_e32 v21, v19
.LBB3_11:                               ; =>This Inner Loop Header: Depth=1
	v_add_u32_e32 v22, s12, v18
	v_add_u32_e32 v21, -2, v21
	v_ashrrev_i32_e32 v23, 31, v22
	v_add_u32_e32 v26, s13, v17
	s_add_i32 s13, s13, s16
	s_add_i32 s12, s12, s15
	v_cmp_eq_u32_e64 s[4:5], 0, v21
	v_lshlrev_b64 v[22:23], 2, v[22:23]
	v_ashrrev_i32_e32 v27, 31, v26
	s_or_b64 s[10:11], s[4:5], s[10:11]
	v_add_co_u32_e64 v22, s[4:5], v9, v22
	v_lshlrev_b64 v[26:27], 2, v[26:27]
	v_addc_co_u32_e64 v23, s[4:5], v10, v23, s[4:5]
	v_add_co_u32_e64 v26, s[4:5], v9, v26
	v_addc_co_u32_e64 v27, s[4:5], v10, v27, s[4:5]
	flat_store_dword v[22:23], v20
	flat_store_dword v[26:27], v20
	s_andn2_b64 exec, exec, s[10:11]
	s_cbranch_execnz .LBB3_11
; %bb.12:
	s_or_b64 exec, exec, s[10:11]
	v_cmp_ne_u32_e64 s[4:5], v12, v19
	v_mul_lo_u32 v17, v19, s14
	s_orn2_b64 s[10:11], s[4:5], exec
.LBB3_13:
	s_or_b64 exec, exec, s[6:7]
	s_and_b64 exec, exec, s[10:11]
	s_cbranch_execz .LBB3_16
; %bb.14:
	v_ashrrev_i32_e32 v19, 31, v17
	v_add_co_u32_e64 v20, s[4:5], v17, v18
	v_addc_co_u32_e64 v21, s[4:5], 0, v19, s[4:5]
	v_lshlrev_b64 v[20:21], 2, v[20:21]
	s_ashr_i32 s15, s14, 31
	v_add_co_u32_e64 v20, s[4:5], v9, v20
	s_lshl_b64 s[10:11], s[14:15], 2
	v_mov_b32_e32 v12, 0
	v_addc_co_u32_e64 v21, s[4:5], v10, v21, s[4:5]
	v_add_u32_e32 v17, v18, v17
	s_mov_b64 s[12:13], 0
	v_mov_b32_e32 v19, s11
.LBB3_15:                               ; =>This Inner Loop Header: Depth=1
	v_add_u32_e32 v17, s14, v17
	flat_store_dword v[20:21], v12
	v_add_co_u32_e64 v20, s[4:5], s10, v20
	v_cmp_ge_i32_e64 s[6:7], v17, v13
	s_or_b64 s[12:13], s[6:7], s[12:13]
	v_addc_co_u32_e64 v21, s[4:5], v21, v19, s[4:5]
	s_andn2_b64 exec, exec, s[12:13]
	s_cbranch_execnz .LBB3_15
.LBB3_16:
	s_or_b64 exec, exec, s[8:9]
	v_cmp_eq_u32_e64 s[4:5], 0, v18
	s_and_saveexec_b64 s[8:9], s[4:5]
	s_cbranch_execz .LBB3_20
; %bb.17:
	v_cmp_ne_u64_e64 s[6:7], 0, v[14:15]
	s_and_saveexec_b64 s[10:11], s[6:7]
	s_cbranch_execz .LBB3_19
; %bb.18:
	flat_store_dword v[14:15], v0
.LBB3_19:
	s_or_b64 exec, exec, s[10:11]
	v_ashrrev_i32_e32 v12, 31, v0
	v_add_co_u32_e64 v20, s[6:7], v1, v0
	v_addc_co_u32_e64 v21, s[6:7], v2, v12, s[6:7]
	v_mov_b32_e32 v12, 1
	flat_store_byte v[20:21], v12
.LBB3_20:
	s_or_b64 exec, exec, s[8:9]
	v_mul_lo_u32 v17, v13, v0
	v_mov_b32_e32 v12, 8
	v_mov_b32_e32 v54, -1
	v_mov_b32_e32 v48, -1
	s_waitcnt lgkmcnt(0)
	s_barrier
	s_and_saveexec_b64 s[6:7], vcc
	s_cbranch_execz .LBB3_22
; %bb.21:
	v_add_u32_e32 v20, v17, v18
	v_ashrrev_i32_e32 v21, 31, v20
	v_lshlrev_b64 v[20:21], 2, v[20:21]
	v_add_co_u32_e32 v20, vcc, v7, v20
	v_addc_co_u32_e32 v21, vcc, v8, v21, vcc
	flat_load_dword v48, v[20:21]
	s_waitcnt vmcnt(0) lgkmcnt(0)
	v_lshrrev_b32_e32 v12, 28, v48
	v_and_b32_e32 v12, 8, v12
.LBB3_22:
	s_or_b64 exec, exec, s[6:7]
	v_cmp_eq_u32_e32 vcc, 0, v12
	v_mov_b32_e32 v50, -1
	v_mov_b32_e32 v52, -1
	;; [unrolled: 1-line block ×10, first 2 shown]
	s_and_saveexec_b64 s[6:7], vcc
	s_cbranch_execz .LBB3_66
; %bb.23:
	v_cmp_lt_i32_e32 vcc, v25, v13
	v_mov_b32_e32 v12, 8
	v_mov_b32_e32 v50, -1
	v_mov_b32_e32 v54, -1
	s_and_saveexec_b64 s[8:9], vcc
	s_cbranch_execz .LBB3_25
; %bb.24:
	v_add_u32_e32 v20, v25, v17
	v_ashrrev_i32_e32 v21, 31, v20
	v_lshlrev_b64 v[20:21], 2, v[20:21]
	v_add_co_u32_e32 v20, vcc, v7, v20
	v_addc_co_u32_e32 v21, vcc, v8, v21, vcc
	flat_load_dword v54, v[20:21]
	s_waitcnt vmcnt(0) lgkmcnt(0)
	v_lshrrev_b32_e32 v12, 28, v54
	v_and_b32_e32 v12, 8, v12
.LBB3_25:
	s_or_b64 exec, exec, s[8:9]
	v_cmp_eq_u32_e32 vcc, 0, v12
	v_mov_b32_e32 v52, -1
	v_mov_b32_e32 v60, -1
	;; [unrolled: 1-line block ×9, first 2 shown]
	s_and_saveexec_b64 s[8:9], vcc
	s_cbranch_execz .LBB3_65
; %bb.26:
	v_add_u32_e32 v12, s14, v25
	v_cmp_lt_i32_e32 vcc, v12, v13
	s_mov_b64 s[12:13], 0
	v_mov_b32_e32 v52, -1
	v_mov_b32_e32 v50, -1
	s_and_saveexec_b64 s[10:11], vcc
	s_cbranch_execz .LBB3_28
; %bb.27:
	v_add_u32_e32 v20, v12, v17
	v_ashrrev_i32_e32 v21, 31, v20
	v_lshlrev_b64 v[20:21], 2, v[20:21]
	v_add_co_u32_e32 v20, vcc, v7, v20
	v_addc_co_u32_e32 v21, vcc, v8, v21, vcc
	flat_load_dword v50, v[20:21]
	s_waitcnt vmcnt(0) lgkmcnt(0)
	v_cmp_lt_i32_e32 vcc, -1, v50
	s_and_b64 s[12:13], vcc, exec
.LBB3_28:
	s_or_b64 exec, exec, s[10:11]
	v_mov_b32_e32 v60, -1
	v_mov_b32_e32 v58, -1
	;; [unrolled: 1-line block ×8, first 2 shown]
	s_and_saveexec_b64 s[10:11], s[12:13]
	s_cbranch_execz .LBB3_64
; %bb.29:
	v_add_u32_e32 v12, s14, v12
	v_cmp_lt_i32_e32 vcc, v12, v13
	s_mov_b64 s[16:17], 0
	v_mov_b32_e32 v60, -1
	v_mov_b32_e32 v52, -1
	s_and_saveexec_b64 s[12:13], vcc
	s_cbranch_execz .LBB3_31
; %bb.30:
	v_add_u32_e32 v20, v12, v17
	v_ashrrev_i32_e32 v21, 31, v20
	v_lshlrev_b64 v[20:21], 2, v[20:21]
	v_add_co_u32_e32 v20, vcc, v7, v20
	v_addc_co_u32_e32 v21, vcc, v8, v21, vcc
	flat_load_dword v52, v[20:21]
	s_waitcnt vmcnt(0) lgkmcnt(0)
	v_cmp_lt_i32_e32 vcc, -1, v52
	s_and_b64 s[16:17], vcc, exec
.LBB3_31:
	s_or_b64 exec, exec, s[12:13]
	v_mov_b32_e32 v58, -1
	v_mov_b32_e32 v56, -1
	;; [unrolled: 1-line block ×7, first 2 shown]
	s_and_saveexec_b64 s[12:13], s[16:17]
	s_cbranch_execz .LBB3_63
; %bb.32:
	v_add_u32_e32 v12, s14, v12
	v_cmp_lt_i32_e32 vcc, v12, v13
	s_mov_b64 s[18:19], 0
	v_mov_b32_e32 v58, -1
	v_mov_b32_e32 v60, -1
	s_and_saveexec_b64 s[16:17], vcc
	s_cbranch_execz .LBB3_34
; %bb.33:
	v_add_u32_e32 v20, v12, v17
	v_ashrrev_i32_e32 v21, 31, v20
	v_lshlrev_b64 v[20:21], 2, v[20:21]
	v_add_co_u32_e32 v20, vcc, v7, v20
	v_addc_co_u32_e32 v21, vcc, v8, v21, vcc
	flat_load_dword v60, v[20:21]
	s_waitcnt vmcnt(0) lgkmcnt(0)
	v_cmp_lt_i32_e32 vcc, -1, v60
	s_and_b64 s[18:19], vcc, exec
.LBB3_34:
	s_or_b64 exec, exec, s[16:17]
	v_mov_b32_e32 v56, -1
	v_mov_b32_e32 v44, -1
	;; [unrolled: 1-line block ×6, first 2 shown]
	s_and_saveexec_b64 s[16:17], s[18:19]
	s_cbranch_execz .LBB3_62
; %bb.35:
	v_add_u32_e32 v12, s14, v12
	v_cmp_lt_i32_e32 vcc, v12, v13
	s_mov_b64 s[20:21], 0
	v_mov_b32_e32 v56, -1
	v_mov_b32_e32 v58, -1
	s_and_saveexec_b64 s[18:19], vcc
	s_cbranch_execz .LBB3_37
; %bb.36:
	v_add_u32_e32 v20, v12, v17
	v_ashrrev_i32_e32 v21, 31, v20
	v_lshlrev_b64 v[20:21], 2, v[20:21]
	v_add_co_u32_e32 v20, vcc, v7, v20
	v_addc_co_u32_e32 v21, vcc, v8, v21, vcc
	flat_load_dword v58, v[20:21]
	s_waitcnt vmcnt(0) lgkmcnt(0)
	v_cmp_lt_i32_e32 vcc, -1, v58
	s_and_b64 s[20:21], vcc, exec
.LBB3_37:
	s_or_b64 exec, exec, s[18:19]
	v_mov_b32_e32 v44, -1
	v_mov_b32_e32 v42, -1
	;; [unrolled: 1-line block ×5, first 2 shown]
	s_and_saveexec_b64 s[18:19], s[20:21]
	s_cbranch_execz .LBB3_61
; %bb.38:
	v_add_u32_e32 v12, s14, v12
	v_cmp_lt_i32_e32 vcc, v12, v13
	s_mov_b64 s[22:23], 0
	v_mov_b32_e32 v44, -1
	v_mov_b32_e32 v56, -1
	s_and_saveexec_b64 s[20:21], vcc
	s_cbranch_execz .LBB3_40
; %bb.39:
	v_add_u32_e32 v20, v12, v17
	v_ashrrev_i32_e32 v21, 31, v20
	v_lshlrev_b64 v[20:21], 2, v[20:21]
	v_add_co_u32_e32 v20, vcc, v7, v20
	v_addc_co_u32_e32 v21, vcc, v8, v21, vcc
	flat_load_dword v56, v[20:21]
	s_waitcnt vmcnt(0) lgkmcnt(0)
	v_cmp_lt_i32_e32 vcc, -1, v56
	s_and_b64 s[22:23], vcc, exec
.LBB3_40:
	s_or_b64 exec, exec, s[20:21]
	v_mov_b32_e32 v42, -1
	v_mov_b32_e32 v40, -1
	;; [unrolled: 1-line block ×4, first 2 shown]
	s_and_saveexec_b64 s[20:21], s[22:23]
	s_cbranch_execz .LBB3_60
; %bb.41:
	v_add_u32_e32 v12, s14, v12
	v_cmp_lt_i32_e32 vcc, v12, v13
	s_mov_b64 s[24:25], 0
	v_mov_b32_e32 v42, -1
	v_mov_b32_e32 v44, -1
	s_and_saveexec_b64 s[22:23], vcc
	s_cbranch_execz .LBB3_43
; %bb.42:
	v_add_u32_e32 v20, v12, v17
	v_ashrrev_i32_e32 v21, 31, v20
	v_lshlrev_b64 v[20:21], 2, v[20:21]
	v_add_co_u32_e32 v20, vcc, v7, v20
	v_addc_co_u32_e32 v21, vcc, v8, v21, vcc
	flat_load_dword v44, v[20:21]
	s_waitcnt vmcnt(0) lgkmcnt(0)
	v_cmp_lt_i32_e32 vcc, -1, v44
	s_and_b64 s[24:25], vcc, exec
.LBB3_43:
	s_or_b64 exec, exec, s[22:23]
	v_mov_b32_e32 v40, -1
	v_mov_b32_e32 v22, -1
	;; [unrolled: 1-line block ×3, first 2 shown]
	s_and_saveexec_b64 s[22:23], s[24:25]
	s_cbranch_execz .LBB3_59
; %bb.44:
	v_add_u32_e32 v12, s14, v12
	v_cmp_lt_i32_e32 vcc, v12, v13
	s_mov_b64 s[26:27], 0
	v_mov_b32_e32 v40, -1
	v_mov_b32_e32 v42, -1
	s_and_saveexec_b64 s[24:25], vcc
	s_cbranch_execz .LBB3_46
; %bb.45:
	v_add_u32_e32 v20, v12, v17
	v_ashrrev_i32_e32 v21, 31, v20
	v_lshlrev_b64 v[20:21], 2, v[20:21]
	v_add_co_u32_e32 v20, vcc, v7, v20
	v_addc_co_u32_e32 v21, vcc, v8, v21, vcc
	flat_load_dword v42, v[20:21]
	s_waitcnt vmcnt(0) lgkmcnt(0)
	v_cmp_lt_i32_e32 vcc, -1, v42
	s_and_b64 s[26:27], vcc, exec
.LBB3_46:
	s_or_b64 exec, exec, s[24:25]
	v_mov_b32_e32 v22, -1
	v_mov_b32_e32 v20, -1
	s_and_saveexec_b64 s[24:25], s[26:27]
	s_cbranch_execz .LBB3_58
; %bb.47:
	v_add_u32_e32 v12, s14, v12
	v_cmp_lt_i32_e32 vcc, v12, v13
	s_mov_b64 s[28:29], 0
	v_mov_b32_e32 v22, -1
	v_mov_b32_e32 v40, -1
	s_and_saveexec_b64 s[26:27], vcc
	s_cbranch_execz .LBB3_49
; %bb.48:
	v_add_u32_e32 v20, v12, v17
	v_ashrrev_i32_e32 v21, 31, v20
	v_lshlrev_b64 v[20:21], 2, v[20:21]
	v_add_co_u32_e32 v20, vcc, v7, v20
	v_addc_co_u32_e32 v21, vcc, v8, v21, vcc
	flat_load_dword v40, v[20:21]
	s_waitcnt vmcnt(0) lgkmcnt(0)
	v_cmp_lt_i32_e32 vcc, -1, v40
	s_and_b64 s[28:29], vcc, exec
.LBB3_49:
	s_or_b64 exec, exec, s[26:27]
	v_mov_b32_e32 v20, -1
	s_and_saveexec_b64 s[26:27], s[28:29]
	s_cbranch_execz .LBB3_57
; %bb.50:
	v_add_u32_e32 v12, s14, v12
	v_cmp_lt_i32_e32 vcc, v12, v13
	s_mov_b64 s[30:31], 0
	v_mov_b32_e32 v20, -1
	v_mov_b32_e32 v22, -1
	s_and_saveexec_b64 s[28:29], vcc
	s_cbranch_execz .LBB3_52
; %bb.51:
	v_add_u32_e32 v22, v12, v17
	v_ashrrev_i32_e32 v23, 31, v22
	v_lshlrev_b64 v[22:23], 2, v[22:23]
	v_add_co_u32_e32 v22, vcc, v7, v22
	v_addc_co_u32_e32 v23, vcc, v8, v23, vcc
	flat_load_dword v22, v[22:23]
	s_waitcnt vmcnt(0) lgkmcnt(0)
	v_cmp_lt_i32_e32 vcc, -1, v22
	s_and_b64 s[30:31], vcc, exec
.LBB3_52:
	s_or_b64 exec, exec, s[28:29]
	s_and_saveexec_b64 s[28:29], s[30:31]
	s_cbranch_execz .LBB3_56
; %bb.53:
	v_add_u32_e32 v12, s14, v12
	v_cmp_lt_i32_e32 vcc, v12, v13
	v_mov_b32_e32 v20, -1
	s_and_saveexec_b64 s[30:31], vcc
	s_cbranch_execz .LBB3_55
; %bb.54:
	v_add_u32_e32 v20, v12, v17
	v_ashrrev_i32_e32 v21, 31, v20
	v_lshlrev_b64 v[20:21], 2, v[20:21]
	v_add_co_u32_e32 v20, vcc, v7, v20
	v_addc_co_u32_e32 v21, vcc, v8, v21, vcc
	flat_load_dword v20, v[20:21]
.LBB3_55:
	s_or_b64 exec, exec, s[30:31]
.LBB3_56:
	s_or_b64 exec, exec, s[28:29]
.LBB3_57:
	s_or_b64 exec, exec, s[26:27]
.LBB3_58:
	s_or_b64 exec, exec, s[24:25]
.LBB3_59:
	s_or_b64 exec, exec, s[22:23]
.LBB3_60:
	s_or_b64 exec, exec, s[20:21]
.LBB3_61:
	s_or_b64 exec, exec, s[18:19]
.LBB3_62:
	s_or_b64 exec, exec, s[16:17]
.LBB3_63:
	s_or_b64 exec, exec, s[12:13]
.LBB3_64:
	s_or_b64 exec, exec, s[10:11]
.LBB3_65:
	s_or_b64 exec, exec, s[8:9]
.LBB3_66:
	s_or_b64 exec, exec, s[6:7]
	s_mov_b32 s18, 1
	v_cmp_lt_i32_e32 vcc, 1, v11
	v_mov_b32_e32 v12, 1
	s_waitcnt lgkmcnt(0)
	s_barrier
	s_and_saveexec_b64 s[16:17], vcc
	s_cbranch_execz .LBB3_390
; %bb.67:
	v_lshlrev_b32_e32 v21, 2, v18
	v_add_co_u32_e32 v24, vcc, v9, v21
	s_ashr_i32 s15, s14, 31
	v_addc_co_u32_e32 v25, vcc, 0, v10, vcc
	s_lshl_b64 s[8:9], s[14:15], 2
	v_add_co_u32_e32 v26, vcc, s8, v24
	s_add_i32 s8, s14, s14
	v_add_u32_e32 v30, s8, v18
	v_mov_b32_e32 v12, s9
	v_ashrrev_i32_e32 v31, 31, v30
	v_addc_co_u32_e32 v27, vcc, v25, v12, vcc
	v_lshlrev_b64 v[28:29], 2, v[30:31]
	v_add_u32_e32 v32, s14, v30
	v_add_co_u32_e32 v28, vcc, v9, v28
	v_ashrrev_i32_e32 v33, 31, v32
	v_addc_co_u32_e32 v29, vcc, v10, v29, vcc
	v_lshlrev_b64 v[30:31], 2, v[32:33]
	v_add_u32_e32 v34, s14, v32
	v_add_co_u32_e32 v30, vcc, v9, v30
	;; [unrolled: 5-line block ×3, first 2 shown]
	v_ashrrev_i32_e32 v35, 31, v34
	v_addc_co_u32_e32 v33, vcc, v10, v33, vcc
	v_lshlrev_b64 v[36:37], 2, v[34:35]
	v_add_co_u32_e32 v36, vcc, v9, v36
	v_add_u32_e32 v34, s14, v34
	v_addc_co_u32_e32 v37, vcc, v10, v37, vcc
	v_accvgpr_write_b32 a6, v36
	v_ashrrev_i32_e32 v35, 31, v34
	v_accvgpr_write_b32 a7, v37
	v_lshlrev_b64 v[36:37], 2, v[34:35]
	v_add_co_u32_e32 v36, vcc, v9, v36
	v_add_u32_e32 v34, s14, v34
	v_addc_co_u32_e32 v37, vcc, v10, v37, vcc
	v_accvgpr_write_b32 a8, v36
	v_ashrrev_i32_e32 v35, 31, v34
	v_accvgpr_write_b32 a9, v37
	;; [unrolled: 7-line block ×5, first 2 shown]
	v_lshlrev_b64 v[36:37], 2, v[34:35]
	s_cmp_gt_i32 s14, 1
	v_add_co_u32_e32 v36, vcc, v9, v36
	v_add_u32_e32 v34, s14, v34
	s_cselect_b64 s[22:23], -1, 0
	s_add_i32 s12, s14, -1
	v_addc_co_u32_e32 v37, vcc, v10, v37, vcc
	v_accvgpr_write_b32 a16, v36
	v_ashrrev_i32_e32 v35, 31, v34
	s_add_i32 s13, s14, -2
	s_and_b32 s15, s12, 3
	v_accvgpr_write_b32 a17, v37
	v_lshlrev_b64 v[36:37], 2, v[34:35]
	s_cmp_gt_u32 s13, 2
	v_add_co_u32_e32 v36, vcc, v9, v36
	s_cselect_b64 s[24:25], -1, 0
	s_and_b32 s66, s12, -4
	v_addc_co_u32_e32 v37, vcc, v10, v37, vcc
	v_accvgpr_write_b32 a18, v36
	v_add_u32_e32 v53, s14, v34
	s_cmp_lg_u32 s15, 0
	v_mul_f32_e32 v19, 0x40400000, v16
	v_mov_b32_e32 v49, 0
	v_add_f32_e32 v51, 1.0, v16
	v_cmp_lt_i32_e64 s[6:7], 0, v13
	v_accvgpr_write_b32 a19, v37
	v_cmp_lt_i32_e64 s[8:9], v53, v13
	v_add_u32_e32 v55, 0x100, v21
	s_mov_b64 s[20:21], 0
	v_cmp_ne_u64_e64 s[10:11], 0, v[14:15]
	s_cselect_b64 s[26:27], -1, 0
	v_mov_b32_e32 v41, 1
	v_mov_b32_e32 v43, v0
	s_branch .LBB3_70
.LBB3_68:                               ;   in Loop: Header=BB3_70 Depth=1
	s_or_b64 exec, exec, s[28:29]
	s_add_i32 s18, s18, 1
.LBB3_69:                               ;   in Loop: Header=BB3_70 Depth=1
	v_cmp_ge_i32_e32 vcc, s18, v11
	s_xor_b64 s[12:13], s[12:13], -1
	s_or_b64 s[12:13], vcc, s[12:13]
	s_and_b64 s[12:13], exec, s[12:13]
	s_or_b64 s[20:21], s[12:13], s[20:21]
	v_mov_b32_e32 v12, s18
	v_mov_b32_e32 v43, v23
	s_waitcnt lgkmcnt(0)
	s_barrier
	s_andn2_b64 exec, exec, s[20:21]
	s_cbranch_execz .LBB3_389
.LBB3_70:                               ; =>This Loop Header: Depth=1
                                        ;     Child Loop BB3_79 Depth 2
                                        ;     Child Loop BB3_98 Depth 2
	;; [unrolled: 1-line block ×13, first 2 shown]
                                        ;       Child Loop BB3_325 Depth 3
                                        ;     Child Loop BB3_336 Depth 2
                                        ;     Child Loop BB3_374 Depth 2
	v_mul_lo_u32 v46, v43, v13
	v_cmp_lt_i32_e32 vcc, -1, v48
	v_mov_b32_e32 v47, -1
	v_mov_b32_e32 v45, v19
	v_mov_b32_e32 v57, 0
	s_and_saveexec_b64 s[28:29], vcc
	s_cbranch_execz .LBB3_308
; %bb.71:                               ;   in Loop: Header=BB3_70 Depth=1
	v_cmp_ne_u32_e32 vcc, v48, v0
	v_mov_b32_e32 v57, 0
	v_mov_b32_e32 v47, -1
	v_mov_b32_e32 v45, v19
	v_mov_b32_e32 v12, v0
	s_and_saveexec_b64 s[12:13], vcc
	s_cbranch_execz .LBB3_89
; %bb.72:                               ;   in Loop: Header=BB3_70 Depth=1
	flat_load_dword v23, v[24:25]
	v_mov_b32_e32 v47, -1
	v_mov_b32_e32 v57, 0
	v_mov_b32_e32 v12, v0
	;; [unrolled: 1-line block ×3, first 2 shown]
	s_waitcnt vmcnt(0) lgkmcnt(0)
	v_cmp_ngt_f32_e32 vcc, v23, v16
	s_and_saveexec_b64 s[30:31], vcc
	s_cbranch_execz .LBB3_88
; %bb.73:                               ;   in Loop: Header=BB3_70 Depth=1
	v_add_co_u32_e32 v34, vcc, v1, v48
	v_addc_co_u32_e32 v35, vcc, 0, v2, vcc
	flat_load_ubyte v34, v[34:35]
	v_mov_b32_e32 v47, -1
	v_mov_b32_e32 v57, 0
	v_mov_b32_e32 v12, v0
	;; [unrolled: 1-line block ×3, first 2 shown]
	s_waitcnt vmcnt(0) lgkmcnt(0)
	v_cmp_eq_u16_e32 vcc, 0, v34
	s_and_saveexec_b64 s[34:35], vcc
	s_cbranch_execz .LBB3_87
; %bb.74:                               ;   in Loop: Header=BB3_70 Depth=1
	v_add_co_u32_e32 v34, vcc, v5, v48
	v_addc_co_u32_e32 v35, vcc, 0, v6, vcc
	flat_load_ubyte v34, v[34:35]
	v_mov_b32_e32 v47, -1
	v_mov_b32_e32 v57, 0
	v_mov_b32_e32 v12, v0
	;; [unrolled: 1-line block ×3, first 2 shown]
	s_waitcnt vmcnt(0) lgkmcnt(0)
	v_cmp_eq_u16_e32 vcc, 0, v34
	s_and_saveexec_b64 s[36:37], vcc
	s_cbranch_execz .LBB3_86
; %bb.75:                               ;   in Loop: Header=BB3_70 Depth=1
	v_mov_b32_e32 v57, 0
	v_mov_b32_e32 v12, v51
	s_and_saveexec_b64 s[38:39], s[6:7]
	s_cbranch_execz .LBB3_83
; %bb.76:                               ;   in Loop: Header=BB3_70 Depth=1
	v_ashrrev_i32_e32 v47, 31, v46
	v_lshlrev_b64 v[34:35], 2, v[46:47]
	v_add_co_u32_e32 v38, vcc, v3, v34
	v_addc_co_u32_e32 v39, vcc, v4, v35, vcc
	v_add_co_u32_e32 v36, vcc, v7, v34
	v_addc_co_u32_e32 v37, vcc, v8, v35, vcc
	s_mov_b32 s19, 1
	s_mov_b64 s[40:41], 0
	v_mov_b32_e32 v34, 0
	v_mov_b32_e32 v12, v51
                                        ; implicit-def: $sgpr42_sgpr43
	s_branch .LBB3_79
.LBB3_77:                               ;   in Loop: Header=BB3_79 Depth=2
	s_or_b64 exec, exec, s[48:49]
	s_andn2_b64 vcc, s[42:43], exec
	s_and_b64 s[42:43], s[46:47], exec
	s_or_b64 s[42:43], vcc, s[42:43]
	v_mov_b32_e32 v57, v34
.LBB3_78:                               ;   in Loop: Header=BB3_79 Depth=2
	s_or_b64 exec, exec, s[44:45]
	v_cmp_ge_i32_e32 vcc, s19, v13
	s_xor_b64 s[44:45], s[42:43], -1
	s_or_b64 s[44:45], s[44:45], vcc
	v_add_co_u32_e32 v38, vcc, 4, v38
	v_addc_co_u32_e32 v39, vcc, 0, v39, vcc
	v_add_co_u32_e32 v36, vcc, 4, v36
	s_add_i32 s19, s19, 1
	v_addc_co_u32_e32 v37, vcc, 0, v37, vcc
	s_and_b64 vcc, exec, s[44:45]
	s_or_b64 s[40:41], vcc, s[40:41]
	v_mov_b32_e32 v34, v57
	s_andn2_b64 exec, exec, s[40:41]
	s_cbranch_execz .LBB3_82
.LBB3_79:                               ;   Parent Loop BB3_70 Depth=1
                                        ; =>  This Inner Loop Header: Depth=2
	flat_load_dword v35, v[36:37]
	s_add_i32 vcc_lo, s19, -1
	v_mov_b32_e32 v57, vcc_lo
	s_andn2_b64 s[42:43], s[42:43], exec
	s_waitcnt vmcnt(0) lgkmcnt(0)
	v_cmp_le_u32_e32 vcc, v35, v48
	s_and_saveexec_b64 s[44:45], vcc
	s_cbranch_execz .LBB3_78
; %bb.80:                               ;   in Loop: Header=BB3_79 Depth=2
	v_cmp_eq_u32_e32 vcc, v35, v48
	s_mov_b64 s[46:47], -1
	s_and_saveexec_b64 s[48:49], vcc
	s_cbranch_execz .LBB3_77
; %bb.81:                               ;   in Loop: Header=BB3_79 Depth=2
	flat_load_dword v12, v[38:39]
	s_xor_b64 s[46:47], exec, -1
	s_branch .LBB3_77
.LBB3_82:                               ;   in Loop: Header=BB3_70 Depth=1
	s_or_b64 exec, exec, s[40:41]
.LBB3_83:                               ;   in Loop: Header=BB3_70 Depth=1
	s_or_b64 exec, exec, s[38:39]
	s_waitcnt vmcnt(0) lgkmcnt(0)
	v_cmp_gt_f32_e32 vcc, v12, v23
	s_and_saveexec_b64 s[38:39], vcc
	s_cbranch_execz .LBB3_85
; %bb.84:                               ;   in Loop: Header=BB3_70 Depth=1
	v_mov_b32_e32 v23, v12
	flat_store_dword v[24:25], v12
.LBB3_85:                               ;   in Loop: Header=BB3_70 Depth=1
	s_or_b64 exec, exec, s[38:39]
	v_cmp_lt_f32_e32 vcc, v23, v19
	v_cndmask_b32_e32 v45, v19, v23, vcc
	v_cndmask_b32_e32 v47, -1, v48, vcc
	v_mov_b32_e32 v12, v48
.LBB3_86:                               ;   in Loop: Header=BB3_70 Depth=1
	s_or_b64 exec, exec, s[36:37]
.LBB3_87:                               ;   in Loop: Header=BB3_70 Depth=1
	s_or_b64 exec, exec, s[34:35]
.LBB3_88:                               ;   in Loop: Header=BB3_70 Depth=1
	s_or_b64 exec, exec, s[30:31]
.LBB3_89:                               ;   in Loop: Header=BB3_70 Depth=1
	s_or_b64 exec, exec, s[12:13]
	v_cmp_lt_i32_e32 vcc, -1, v54
	s_and_saveexec_b64 s[30:31], vcc
	s_cbranch_execz .LBB3_307
; %bb.90:                               ;   in Loop: Header=BB3_70 Depth=1
	v_cmp_ne_u32_e32 vcc, v54, v0
	v_mov_b32_e32 v34, v0
	s_and_saveexec_b64 s[12:13], vcc
	s_cbranch_execz .LBB3_108
; %bb.91:                               ;   in Loop: Header=BB3_70 Depth=1
	flat_load_dword v23, v[26:27]
	v_mov_b32_e32 v34, v0
	s_waitcnt vmcnt(0) lgkmcnt(0)
	v_cmp_ngt_f32_e32 vcc, v23, v16
	s_and_saveexec_b64 s[34:35], vcc
	s_cbranch_execz .LBB3_107
; %bb.92:                               ;   in Loop: Header=BB3_70 Depth=1
	v_add_co_u32_e32 v34, vcc, v1, v54
	v_addc_co_u32_e32 v35, vcc, 0, v2, vcc
	flat_load_ubyte v34, v[34:35]
	s_waitcnt vmcnt(0) lgkmcnt(0)
	v_cmp_eq_u16_e32 vcc, 0, v34
	v_mov_b32_e32 v34, v0
	s_and_saveexec_b64 s[36:37], vcc
	s_cbranch_execz .LBB3_106
; %bb.93:                               ;   in Loop: Header=BB3_70 Depth=1
	v_add_co_u32_e32 v34, vcc, v5, v54
	v_addc_co_u32_e32 v35, vcc, 0, v6, vcc
	flat_load_ubyte v34, v[34:35]
	s_waitcnt vmcnt(0) lgkmcnt(0)
	v_cmp_eq_u16_e32 vcc, 0, v34
	v_mov_b32_e32 v34, v0
	s_and_saveexec_b64 s[38:39], vcc
	s_cbranch_execz .LBB3_105
; %bb.94:                               ;   in Loop: Header=BB3_70 Depth=1
	v_cmp_lt_i32_e32 vcc, v57, v13
	v_mov_b32_e32 v34, v51
	s_and_saveexec_b64 s[40:41], vcc
	s_cbranch_execz .LBB3_102
; %bb.95:                               ;   in Loop: Header=BB3_70 Depth=1
	v_add_u32_e32 v34, v57, v46
	v_ashrrev_i32_e32 v35, 31, v34
	v_lshlrev_b64 v[34:35], 2, v[34:35]
	v_add_co_u32_e32 v36, vcc, v3, v34
	v_addc_co_u32_e32 v37, vcc, v4, v35, vcc
	v_add_co_u32_e32 v38, vcc, v7, v34
	v_addc_co_u32_e32 v39, vcc, v8, v35, vcc
	s_mov_b64 s[42:43], 0
	v_mov_b32_e32 v34, v51
	v_mov_b32_e32 v35, v57
                                        ; implicit-def: $sgpr44_sgpr45
	s_branch .LBB3_98
.LBB3_96:                               ;   in Loop: Header=BB3_98 Depth=2
	s_or_b64 exec, exec, s[50:51]
	s_andn2_b64 vcc, s[44:45], exec
	s_and_b64 s[44:45], s[48:49], exec
	s_or_b64 s[44:45], vcc, s[44:45]
	v_mov_b32_e32 v48, v57
.LBB3_97:                               ;   in Loop: Header=BB3_98 Depth=2
	s_or_b64 exec, exec, s[46:47]
	v_add_u32_e32 v35, 1, v35
	v_cmp_ge_i32_e32 vcc, v35, v13
	s_xor_b64 s[46:47], s[44:45], -1
	s_or_b64 s[46:47], s[46:47], vcc
	v_add_co_u32_e32 v36, vcc, 4, v36
	v_addc_co_u32_e32 v37, vcc, 0, v37, vcc
	v_add_co_u32_e32 v38, vcc, 4, v38
	v_addc_co_u32_e32 v39, vcc, 0, v39, vcc
	s_and_b64 vcc, exec, s[46:47]
	s_or_b64 s[42:43], vcc, s[42:43]
	v_mov_b32_e32 v57, v48
	s_andn2_b64 exec, exec, s[42:43]
	s_cbranch_execz .LBB3_101
.LBB3_98:                               ;   Parent Loop BB3_70 Depth=1
                                        ; =>  This Inner Loop Header: Depth=2
	flat_load_dword v59, v[38:39]
	s_andn2_b64 s[44:45], s[44:45], exec
	v_mov_b32_e32 v48, v35
	s_waitcnt vmcnt(0) lgkmcnt(0)
	v_cmp_le_u32_e32 vcc, v59, v54
	s_and_saveexec_b64 s[46:47], vcc
	s_cbranch_execz .LBB3_97
; %bb.99:                               ;   in Loop: Header=BB3_98 Depth=2
	v_cmp_eq_u32_e32 vcc, v59, v54
	s_mov_b64 s[48:49], -1
	s_and_saveexec_b64 s[50:51], vcc
	s_cbranch_execz .LBB3_96
; %bb.100:                              ;   in Loop: Header=BB3_98 Depth=2
	flat_load_dword v34, v[36:37]
	s_xor_b64 s[48:49], exec, -1
	s_branch .LBB3_96
.LBB3_101:                              ;   in Loop: Header=BB3_70 Depth=1
	s_or_b64 exec, exec, s[42:43]
	v_mov_b32_e32 v57, v48
.LBB3_102:                              ;   in Loop: Header=BB3_70 Depth=1
	s_or_b64 exec, exec, s[40:41]
	s_waitcnt vmcnt(0) lgkmcnt(0)
	v_cmp_gt_f32_e32 vcc, v34, v23
	s_and_saveexec_b64 s[40:41], vcc
	s_cbranch_execz .LBB3_104
; %bb.103:                              ;   in Loop: Header=BB3_70 Depth=1
	v_mov_b32_e32 v23, v34
	flat_store_dword v[26:27], v34
.LBB3_104:                              ;   in Loop: Header=BB3_70 Depth=1
	s_or_b64 exec, exec, s[40:41]
	v_cmp_lt_f32_e32 vcc, v23, v45
	v_cndmask_b32_e32 v45, v45, v23, vcc
	v_cndmask_b32_e32 v47, v47, v54, vcc
	v_mov_b32_e32 v34, v54
.LBB3_105:                              ;   in Loop: Header=BB3_70 Depth=1
	s_or_b64 exec, exec, s[38:39]
.LBB3_106:                              ;   in Loop: Header=BB3_70 Depth=1
	s_or_b64 exec, exec, s[36:37]
.LBB3_107:                              ;   in Loop: Header=BB3_70 Depth=1
	s_or_b64 exec, exec, s[34:35]
.LBB3_108:                              ;   in Loop: Header=BB3_70 Depth=1
	s_or_b64 exec, exec, s[12:13]
	v_cmp_lt_i32_e32 vcc, -1, v50
	s_and_saveexec_b64 s[34:35], vcc
	s_cbranch_execz .LBB3_306
; %bb.109:                              ;   in Loop: Header=BB3_70 Depth=1
	v_cmp_ne_u32_e32 vcc, v50, v0
	v_mov_b32_e32 v35, v0
	s_and_saveexec_b64 s[12:13], vcc
	s_cbranch_execz .LBB3_127
; %bb.110:                              ;   in Loop: Header=BB3_70 Depth=1
	flat_load_dword v23, v[28:29]
	v_mov_b32_e32 v35, v0
	s_waitcnt vmcnt(0) lgkmcnt(0)
	v_cmp_ngt_f32_e32 vcc, v23, v16
	s_and_saveexec_b64 s[36:37], vcc
	s_cbranch_execz .LBB3_126
; %bb.111:                              ;   in Loop: Header=BB3_70 Depth=1
	v_add_co_u32_e32 v36, vcc, v1, v50
	v_addc_co_u32_e32 v37, vcc, 0, v2, vcc
	flat_load_ubyte v35, v[36:37]
	s_waitcnt vmcnt(0) lgkmcnt(0)
	v_cmp_eq_u16_e32 vcc, 0, v35
	v_mov_b32_e32 v35, v0
	s_and_saveexec_b64 s[38:39], vcc
	s_cbranch_execz .LBB3_125
; %bb.112:                              ;   in Loop: Header=BB3_70 Depth=1
	v_add_co_u32_e32 v36, vcc, v5, v50
	v_addc_co_u32_e32 v37, vcc, 0, v6, vcc
	flat_load_ubyte v35, v[36:37]
	s_waitcnt vmcnt(0) lgkmcnt(0)
	v_cmp_eq_u16_e32 vcc, 0, v35
	v_mov_b32_e32 v35, v0
	s_and_saveexec_b64 s[40:41], vcc
	s_cbranch_execz .LBB3_124
; %bb.113:                              ;   in Loop: Header=BB3_70 Depth=1
	v_cmp_lt_i32_e32 vcc, v57, v13
	v_mov_b32_e32 v35, v51
	s_and_saveexec_b64 s[42:43], vcc
	s_cbranch_execz .LBB3_121
; %bb.114:                              ;   in Loop: Header=BB3_70 Depth=1
	v_add_u32_e32 v36, v57, v46
	v_ashrrev_i32_e32 v37, 31, v36
	v_lshlrev_b64 v[38:39], 2, v[36:37]
	v_add_co_u32_e32 v36, vcc, v3, v38
	v_addc_co_u32_e32 v37, vcc, v4, v39, vcc
	v_add_co_u32_e32 v38, vcc, v7, v38
	v_addc_co_u32_e32 v39, vcc, v8, v39, vcc
	s_mov_b64 s[44:45], 0
	v_mov_b32_e32 v48, v57
	v_mov_b32_e32 v35, v51
                                        ; implicit-def: $sgpr46_sgpr47
	s_branch .LBB3_117
.LBB3_115:                              ;   in Loop: Header=BB3_117 Depth=2
	s_or_b64 exec, exec, s[52:53]
	s_andn2_b64 vcc, s[46:47], exec
	s_and_b64 s[46:47], s[50:51], exec
	s_or_b64 s[46:47], vcc, s[46:47]
	v_mov_b32_e32 v54, v57
.LBB3_116:                              ;   in Loop: Header=BB3_117 Depth=2
	s_or_b64 exec, exec, s[48:49]
	v_add_u32_e32 v48, 1, v48
	v_cmp_ge_i32_e32 vcc, v48, v13
	s_xor_b64 s[48:49], s[46:47], -1
	s_or_b64 s[48:49], s[48:49], vcc
	v_add_co_u32_e32 v36, vcc, 4, v36
	v_addc_co_u32_e32 v37, vcc, 0, v37, vcc
	v_add_co_u32_e32 v38, vcc, 4, v38
	v_addc_co_u32_e32 v39, vcc, 0, v39, vcc
	s_and_b64 vcc, exec, s[48:49]
	s_or_b64 s[44:45], vcc, s[44:45]
	v_mov_b32_e32 v57, v54
	s_andn2_b64 exec, exec, s[44:45]
	s_cbranch_execz .LBB3_120
.LBB3_117:                              ;   Parent Loop BB3_70 Depth=1
                                        ; =>  This Inner Loop Header: Depth=2
	flat_load_dword v59, v[38:39]
	s_andn2_b64 s[46:47], s[46:47], exec
	v_mov_b32_e32 v54, v48
	s_waitcnt vmcnt(0) lgkmcnt(0)
	v_cmp_le_u32_e32 vcc, v59, v50
	s_and_saveexec_b64 s[48:49], vcc
	s_cbranch_execz .LBB3_116
; %bb.118:                              ;   in Loop: Header=BB3_117 Depth=2
	v_cmp_eq_u32_e32 vcc, v59, v50
	s_mov_b64 s[50:51], -1
	s_and_saveexec_b64 s[52:53], vcc
	s_cbranch_execz .LBB3_115
; %bb.119:                              ;   in Loop: Header=BB3_117 Depth=2
	flat_load_dword v35, v[36:37]
	s_xor_b64 s[50:51], exec, -1
	s_branch .LBB3_115
.LBB3_120:                              ;   in Loop: Header=BB3_70 Depth=1
	s_or_b64 exec, exec, s[44:45]
	v_mov_b32_e32 v57, v54
.LBB3_121:                              ;   in Loop: Header=BB3_70 Depth=1
	s_or_b64 exec, exec, s[42:43]
	s_waitcnt vmcnt(0) lgkmcnt(0)
	v_cmp_gt_f32_e32 vcc, v35, v23
	s_and_saveexec_b64 s[42:43], vcc
	s_cbranch_execz .LBB3_123
; %bb.122:                              ;   in Loop: Header=BB3_70 Depth=1
	v_mov_b32_e32 v23, v35
	flat_store_dword v[28:29], v35
.LBB3_123:                              ;   in Loop: Header=BB3_70 Depth=1
	s_or_b64 exec, exec, s[42:43]
	v_cmp_lt_f32_e32 vcc, v23, v45
	v_cndmask_b32_e32 v45, v45, v23, vcc
	v_cndmask_b32_e32 v47, v47, v50, vcc
	v_mov_b32_e32 v35, v50
.LBB3_124:                              ;   in Loop: Header=BB3_70 Depth=1
	s_or_b64 exec, exec, s[40:41]
.LBB3_125:                              ;   in Loop: Header=BB3_70 Depth=1
	s_or_b64 exec, exec, s[38:39]
.LBB3_126:                              ;   in Loop: Header=BB3_70 Depth=1
	s_or_b64 exec, exec, s[36:37]
.LBB3_127:                              ;   in Loop: Header=BB3_70 Depth=1
	s_or_b64 exec, exec, s[12:13]
	v_cmp_lt_i32_e32 vcc, -1, v52
	s_and_saveexec_b64 s[36:37], vcc
	s_cbranch_execz .LBB3_305
; %bb.128:                              ;   in Loop: Header=BB3_70 Depth=1
	v_cmp_ne_u32_e32 vcc, v52, v0
	v_mov_b32_e32 v48, v0
	s_and_saveexec_b64 s[12:13], vcc
	s_cbranch_execz .LBB3_146
; %bb.129:                              ;   in Loop: Header=BB3_70 Depth=1
	flat_load_dword v23, v[30:31]
	v_mov_b32_e32 v48, v0
	s_waitcnt vmcnt(0) lgkmcnt(0)
	v_cmp_ngt_f32_e32 vcc, v23, v16
	s_and_saveexec_b64 s[38:39], vcc
	s_cbranch_execz .LBB3_145
; %bb.130:                              ;   in Loop: Header=BB3_70 Depth=1
	v_add_co_u32_e32 v36, vcc, v1, v52
	v_addc_co_u32_e32 v37, vcc, 0, v2, vcc
	flat_load_ubyte v36, v[36:37]
	v_mov_b32_e32 v48, v0
	s_waitcnt vmcnt(0) lgkmcnt(0)
	v_cmp_eq_u16_e32 vcc, 0, v36
	s_and_saveexec_b64 s[40:41], vcc
	s_cbranch_execz .LBB3_144
; %bb.131:                              ;   in Loop: Header=BB3_70 Depth=1
	v_add_co_u32_e32 v36, vcc, v5, v52
	v_addc_co_u32_e32 v37, vcc, 0, v6, vcc
	flat_load_ubyte v36, v[36:37]
	v_mov_b32_e32 v48, v0
	s_waitcnt vmcnt(0) lgkmcnt(0)
	v_cmp_eq_u16_e32 vcc, 0, v36
	s_and_saveexec_b64 s[42:43], vcc
	s_cbranch_execz .LBB3_143
; %bb.132:                              ;   in Loop: Header=BB3_70 Depth=1
	v_cmp_lt_i32_e32 vcc, v57, v13
	v_mov_b32_e32 v48, v51
	s_and_saveexec_b64 s[44:45], vcc
	s_cbranch_execz .LBB3_140
; %bb.133:                              ;   in Loop: Header=BB3_70 Depth=1
	v_add_u32_e32 v36, v57, v46
	v_ashrrev_i32_e32 v37, 31, v36
	v_lshlrev_b64 v[38:39], 2, v[36:37]
	v_add_co_u32_e32 v36, vcc, v3, v38
	v_addc_co_u32_e32 v37, vcc, v4, v39, vcc
	v_add_co_u32_e32 v38, vcc, v7, v38
	v_addc_co_u32_e32 v39, vcc, v8, v39, vcc
	s_mov_b64 s[46:47], 0
	v_mov_b32_e32 v50, v57
	v_mov_b32_e32 v48, v51
                                        ; implicit-def: $sgpr48_sgpr49
	s_branch .LBB3_136
.LBB3_134:                              ;   in Loop: Header=BB3_136 Depth=2
	s_or_b64 exec, exec, s[54:55]
	s_andn2_b64 vcc, s[48:49], exec
	s_and_b64 s[48:49], s[52:53], exec
	s_or_b64 s[48:49], vcc, s[48:49]
	v_mov_b32_e32 v54, v50
.LBB3_135:                              ;   in Loop: Header=BB3_136 Depth=2
	s_or_b64 exec, exec, s[50:51]
	v_add_u32_e32 v57, 1, v57
	v_cmp_ge_i32_e32 vcc, v57, v13
	s_xor_b64 s[50:51], s[48:49], -1
	s_or_b64 s[50:51], s[50:51], vcc
	v_add_co_u32_e32 v36, vcc, 4, v36
	v_addc_co_u32_e32 v37, vcc, 0, v37, vcc
	v_add_co_u32_e32 v38, vcc, 4, v38
	v_addc_co_u32_e32 v39, vcc, 0, v39, vcc
	s_and_b64 vcc, exec, s[50:51]
	s_or_b64 s[46:47], vcc, s[46:47]
	v_mov_b32_e32 v50, v54
	s_andn2_b64 exec, exec, s[46:47]
	s_cbranch_execz .LBB3_139
.LBB3_136:                              ;   Parent Loop BB3_70 Depth=1
                                        ; =>  This Inner Loop Header: Depth=2
	flat_load_dword v59, v[38:39]
	s_andn2_b64 s[48:49], s[48:49], exec
	v_mov_b32_e32 v54, v57
	s_waitcnt vmcnt(0) lgkmcnt(0)
	v_cmp_le_u32_e32 vcc, v59, v52
	s_and_saveexec_b64 s[50:51], vcc
	s_cbranch_execz .LBB3_135
; %bb.137:                              ;   in Loop: Header=BB3_136 Depth=2
	v_cmp_eq_u32_e32 vcc, v59, v52
	s_mov_b64 s[52:53], -1
	s_and_saveexec_b64 s[54:55], vcc
	s_cbranch_execz .LBB3_134
; %bb.138:                              ;   in Loop: Header=BB3_136 Depth=2
	flat_load_dword v48, v[36:37]
	s_xor_b64 s[52:53], exec, -1
	s_branch .LBB3_134
.LBB3_139:                              ;   in Loop: Header=BB3_70 Depth=1
	s_or_b64 exec, exec, s[46:47]
	v_mov_b32_e32 v57, v54
.LBB3_140:                              ;   in Loop: Header=BB3_70 Depth=1
	s_or_b64 exec, exec, s[44:45]
	s_waitcnt vmcnt(0) lgkmcnt(0)
	v_cmp_gt_f32_e32 vcc, v48, v23
	s_and_saveexec_b64 s[44:45], vcc
	s_cbranch_execz .LBB3_142
; %bb.141:                              ;   in Loop: Header=BB3_70 Depth=1
	v_mov_b32_e32 v23, v48
	flat_store_dword v[30:31], v48
.LBB3_142:                              ;   in Loop: Header=BB3_70 Depth=1
	s_or_b64 exec, exec, s[44:45]
	v_cmp_lt_f32_e32 vcc, v23, v45
	v_cndmask_b32_e32 v45, v45, v23, vcc
	v_cndmask_b32_e32 v47, v47, v52, vcc
	v_mov_b32_e32 v48, v52
.LBB3_143:                              ;   in Loop: Header=BB3_70 Depth=1
	s_or_b64 exec, exec, s[42:43]
.LBB3_144:                              ;   in Loop: Header=BB3_70 Depth=1
	s_or_b64 exec, exec, s[40:41]
.LBB3_145:                              ;   in Loop: Header=BB3_70 Depth=1
	s_or_b64 exec, exec, s[38:39]
.LBB3_146:                              ;   in Loop: Header=BB3_70 Depth=1
	s_or_b64 exec, exec, s[12:13]
	v_cmp_lt_i32_e32 vcc, -1, v60
	s_and_saveexec_b64 s[38:39], vcc
	s_cbranch_execz .LBB3_304
; %bb.147:                              ;   in Loop: Header=BB3_70 Depth=1
	v_cmp_ne_u32_e32 vcc, v60, v0
	v_mov_b32_e32 v50, v0
	s_and_saveexec_b64 s[12:13], vcc
	s_cbranch_execz .LBB3_165
; %bb.148:                              ;   in Loop: Header=BB3_70 Depth=1
	flat_load_dword v23, v[32:33]
	v_mov_b32_e32 v50, v0
	s_waitcnt vmcnt(0) lgkmcnt(0)
	v_cmp_ngt_f32_e32 vcc, v23, v16
	s_and_saveexec_b64 s[40:41], vcc
	s_cbranch_execz .LBB3_164
; %bb.149:                              ;   in Loop: Header=BB3_70 Depth=1
	v_add_co_u32_e32 v36, vcc, v1, v60
	v_addc_co_u32_e32 v37, vcc, 0, v2, vcc
	flat_load_ubyte v36, v[36:37]
	v_mov_b32_e32 v50, v0
	s_waitcnt vmcnt(0) lgkmcnt(0)
	v_cmp_eq_u16_e32 vcc, 0, v36
	s_and_saveexec_b64 s[42:43], vcc
	s_cbranch_execz .LBB3_163
; %bb.150:                              ;   in Loop: Header=BB3_70 Depth=1
	v_add_co_u32_e32 v36, vcc, v5, v60
	v_addc_co_u32_e32 v37, vcc, 0, v6, vcc
	flat_load_ubyte v36, v[36:37]
	v_mov_b32_e32 v50, v0
	s_waitcnt vmcnt(0) lgkmcnt(0)
	v_cmp_eq_u16_e32 vcc, 0, v36
	s_and_saveexec_b64 s[44:45], vcc
	s_cbranch_execz .LBB3_162
; %bb.151:                              ;   in Loop: Header=BB3_70 Depth=1
	v_cmp_lt_i32_e32 vcc, v57, v13
	v_mov_b32_e32 v50, v51
	s_and_saveexec_b64 s[46:47], vcc
	s_cbranch_execz .LBB3_159
; %bb.152:                              ;   in Loop: Header=BB3_70 Depth=1
	v_add_u32_e32 v36, v57, v46
	v_ashrrev_i32_e32 v37, 31, v36
	v_lshlrev_b64 v[38:39], 2, v[36:37]
	v_add_co_u32_e32 v36, vcc, v3, v38
	v_addc_co_u32_e32 v37, vcc, v4, v39, vcc
	v_add_co_u32_e32 v38, vcc, v7, v38
	v_addc_co_u32_e32 v39, vcc, v8, v39, vcc
	s_mov_b64 s[48:49], 0
	v_mov_b32_e32 v52, v57
	v_mov_b32_e32 v50, v51
                                        ; implicit-def: $sgpr50_sgpr51
	s_branch .LBB3_155
.LBB3_153:                              ;   in Loop: Header=BB3_155 Depth=2
	s_or_b64 exec, exec, s[56:57]
	s_andn2_b64 vcc, s[50:51], exec
	s_and_b64 s[50:51], s[54:55], exec
	s_or_b64 s[50:51], vcc, s[50:51]
	v_mov_b32_e32 v54, v52
.LBB3_154:                              ;   in Loop: Header=BB3_155 Depth=2
	s_or_b64 exec, exec, s[52:53]
	v_add_u32_e32 v57, 1, v57
	v_cmp_ge_i32_e32 vcc, v57, v13
	s_xor_b64 s[52:53], s[50:51], -1
	s_or_b64 s[52:53], s[52:53], vcc
	v_add_co_u32_e32 v36, vcc, 4, v36
	v_addc_co_u32_e32 v37, vcc, 0, v37, vcc
	v_add_co_u32_e32 v38, vcc, 4, v38
	v_addc_co_u32_e32 v39, vcc, 0, v39, vcc
	s_and_b64 vcc, exec, s[52:53]
	s_or_b64 s[48:49], vcc, s[48:49]
	v_mov_b32_e32 v52, v54
	s_andn2_b64 exec, exec, s[48:49]
	s_cbranch_execz .LBB3_158
.LBB3_155:                              ;   Parent Loop BB3_70 Depth=1
                                        ; =>  This Inner Loop Header: Depth=2
	flat_load_dword v59, v[38:39]
	s_andn2_b64 s[50:51], s[50:51], exec
	v_mov_b32_e32 v54, v57
	s_waitcnt vmcnt(0) lgkmcnt(0)
	v_cmp_le_u32_e32 vcc, v59, v60
	s_and_saveexec_b64 s[52:53], vcc
	s_cbranch_execz .LBB3_154
; %bb.156:                              ;   in Loop: Header=BB3_155 Depth=2
	v_cmp_eq_u32_e32 vcc, v59, v60
	s_mov_b64 s[54:55], -1
	s_and_saveexec_b64 s[56:57], vcc
	s_cbranch_execz .LBB3_153
; %bb.157:                              ;   in Loop: Header=BB3_155 Depth=2
	flat_load_dword v50, v[36:37]
	s_xor_b64 s[54:55], exec, -1
	s_branch .LBB3_153
.LBB3_158:                              ;   in Loop: Header=BB3_70 Depth=1
	s_or_b64 exec, exec, s[48:49]
	v_mov_b32_e32 v57, v54
.LBB3_159:                              ;   in Loop: Header=BB3_70 Depth=1
	s_or_b64 exec, exec, s[46:47]
	s_waitcnt vmcnt(0) lgkmcnt(0)
	v_cmp_gt_f32_e32 vcc, v50, v23
	s_and_saveexec_b64 s[46:47], vcc
	s_cbranch_execz .LBB3_161
; %bb.160:                              ;   in Loop: Header=BB3_70 Depth=1
	v_mov_b32_e32 v23, v50
	flat_store_dword v[32:33], v50
.LBB3_161:                              ;   in Loop: Header=BB3_70 Depth=1
	s_or_b64 exec, exec, s[46:47]
	v_cmp_lt_f32_e32 vcc, v23, v45
	v_cndmask_b32_e32 v45, v45, v23, vcc
	v_cndmask_b32_e32 v47, v47, v60, vcc
	v_mov_b32_e32 v50, v60
.LBB3_162:                              ;   in Loop: Header=BB3_70 Depth=1
	s_or_b64 exec, exec, s[44:45]
.LBB3_163:                              ;   in Loop: Header=BB3_70 Depth=1
	s_or_b64 exec, exec, s[42:43]
.LBB3_164:                              ;   in Loop: Header=BB3_70 Depth=1
	s_or_b64 exec, exec, s[40:41]
.LBB3_165:                              ;   in Loop: Header=BB3_70 Depth=1
	s_or_b64 exec, exec, s[12:13]
	v_cmp_lt_i32_e32 vcc, -1, v58
	s_and_saveexec_b64 s[40:41], vcc
	s_cbranch_execz .LBB3_303
; %bb.166:                              ;   in Loop: Header=BB3_70 Depth=1
	v_cmp_ne_u32_e32 vcc, v58, v0
	v_mov_b32_e32 v52, v0
	s_and_saveexec_b64 s[12:13], vcc
	s_cbranch_execz .LBB3_184
; %bb.167:                              ;   in Loop: Header=BB3_70 Depth=1
	v_accvgpr_read_b32 v37, a7
	v_accvgpr_read_b32 v36, a6
	flat_load_dword v23, v[36:37]
	v_mov_b32_e32 v52, v0
	s_waitcnt vmcnt(0) lgkmcnt(0)
	v_cmp_ngt_f32_e32 vcc, v23, v16
	s_and_saveexec_b64 s[42:43], vcc
	s_cbranch_execz .LBB3_183
; %bb.168:                              ;   in Loop: Header=BB3_70 Depth=1
	v_add_co_u32_e32 v36, vcc, v1, v58
	v_addc_co_u32_e32 v37, vcc, 0, v2, vcc
	flat_load_ubyte v36, v[36:37]
	v_mov_b32_e32 v52, v0
	s_waitcnt vmcnt(0) lgkmcnt(0)
	v_cmp_eq_u16_e32 vcc, 0, v36
	s_and_saveexec_b64 s[44:45], vcc
	s_cbranch_execz .LBB3_182
; %bb.169:                              ;   in Loop: Header=BB3_70 Depth=1
	v_add_co_u32_e32 v36, vcc, v5, v58
	v_addc_co_u32_e32 v37, vcc, 0, v6, vcc
	flat_load_ubyte v36, v[36:37]
	v_mov_b32_e32 v52, v0
	s_waitcnt vmcnt(0) lgkmcnt(0)
	v_cmp_eq_u16_e32 vcc, 0, v36
	s_and_saveexec_b64 s[46:47], vcc
	s_cbranch_execz .LBB3_181
; %bb.170:                              ;   in Loop: Header=BB3_70 Depth=1
	v_cmp_lt_i32_e32 vcc, v57, v13
	v_mov_b32_e32 v52, v51
	s_and_saveexec_b64 s[48:49], vcc
	s_cbranch_execz .LBB3_178
; %bb.171:                              ;   in Loop: Header=BB3_70 Depth=1
	v_add_u32_e32 v36, v57, v46
	v_ashrrev_i32_e32 v37, 31, v36
	v_lshlrev_b64 v[38:39], 2, v[36:37]
	v_add_co_u32_e32 v36, vcc, v3, v38
	v_addc_co_u32_e32 v37, vcc, v4, v39, vcc
	v_add_co_u32_e32 v38, vcc, v7, v38
	v_addc_co_u32_e32 v39, vcc, v8, v39, vcc
	s_mov_b64 s[50:51], 0
	v_mov_b32_e32 v54, v57
	v_mov_b32_e32 v52, v51
                                        ; implicit-def: $sgpr52_sgpr53
	s_branch .LBB3_174
.LBB3_172:                              ;   in Loop: Header=BB3_174 Depth=2
	s_or_b64 exec, exec, s[58:59]
	s_andn2_b64 vcc, s[52:53], exec
	s_and_b64 s[52:53], s[56:57], exec
	s_or_b64 s[52:53], vcc, s[52:53]
	v_accvgpr_write_b32 a0, v54
.LBB3_173:                              ;   in Loop: Header=BB3_174 Depth=2
	s_or_b64 exec, exec, s[54:55]
	v_add_u32_e32 v57, 1, v57
	v_cmp_ge_i32_e32 vcc, v57, v13
	s_xor_b64 s[54:55], s[52:53], -1
	s_or_b64 s[54:55], s[54:55], vcc
	v_add_co_u32_e32 v36, vcc, 4, v36
	v_addc_co_u32_e32 v37, vcc, 0, v37, vcc
	v_add_co_u32_e32 v38, vcc, 4, v38
	v_addc_co_u32_e32 v39, vcc, 0, v39, vcc
	s_and_b64 vcc, exec, s[54:55]
	s_or_b64 s[50:51], vcc, s[50:51]
	v_accvgpr_read_b32 v54, a0
	s_andn2_b64 exec, exec, s[50:51]
	s_cbranch_execz .LBB3_177
.LBB3_174:                              ;   Parent Loop BB3_70 Depth=1
                                        ; =>  This Inner Loop Header: Depth=2
	flat_load_dword v59, v[38:39]
	s_andn2_b64 s[52:53], s[52:53], exec
	v_accvgpr_write_b32 a0, v57
	s_waitcnt vmcnt(0) lgkmcnt(0)
	v_cmp_le_u32_e32 vcc, v59, v58
	s_and_saveexec_b64 s[54:55], vcc
	s_cbranch_execz .LBB3_173
; %bb.175:                              ;   in Loop: Header=BB3_174 Depth=2
	v_cmp_eq_u32_e32 vcc, v59, v58
	s_mov_b64 s[56:57], -1
	s_and_saveexec_b64 s[58:59], vcc
	s_cbranch_execz .LBB3_172
; %bb.176:                              ;   in Loop: Header=BB3_174 Depth=2
	flat_load_dword v52, v[36:37]
	s_xor_b64 s[56:57], exec, -1
	s_branch .LBB3_172
.LBB3_177:                              ;   in Loop: Header=BB3_70 Depth=1
	s_or_b64 exec, exec, s[50:51]
	v_accvgpr_read_b32 v57, a0
.LBB3_178:                              ;   in Loop: Header=BB3_70 Depth=1
	s_or_b64 exec, exec, s[48:49]
	s_waitcnt vmcnt(0) lgkmcnt(0)
	v_cmp_gt_f32_e32 vcc, v52, v23
	s_and_saveexec_b64 s[48:49], vcc
	s_cbranch_execz .LBB3_180
; %bb.179:                              ;   in Loop: Header=BB3_70 Depth=1
	v_accvgpr_read_b32 v37, a7
	v_accvgpr_read_b32 v36, a6
	v_mov_b32_e32 v23, v52
	flat_store_dword v[36:37], v52
.LBB3_180:                              ;   in Loop: Header=BB3_70 Depth=1
	s_or_b64 exec, exec, s[48:49]
	v_cmp_lt_f32_e32 vcc, v23, v45
	v_cndmask_b32_e32 v45, v45, v23, vcc
	v_cndmask_b32_e32 v47, v47, v58, vcc
	v_mov_b32_e32 v52, v58
.LBB3_181:                              ;   in Loop: Header=BB3_70 Depth=1
	s_or_b64 exec, exec, s[46:47]
.LBB3_182:                              ;   in Loop: Header=BB3_70 Depth=1
	s_or_b64 exec, exec, s[44:45]
.LBB3_183:                              ;   in Loop: Header=BB3_70 Depth=1
	s_or_b64 exec, exec, s[42:43]
.LBB3_184:                              ;   in Loop: Header=BB3_70 Depth=1
	s_or_b64 exec, exec, s[12:13]
	v_cmp_lt_i32_e32 vcc, -1, v56
	s_and_saveexec_b64 s[42:43], vcc
	s_cbranch_execz .LBB3_302
; %bb.185:                              ;   in Loop: Header=BB3_70 Depth=1
	v_cmp_ne_u32_e32 vcc, v56, v0
	v_mov_b32_e32 v54, v0
	s_and_saveexec_b64 s[12:13], vcc
	s_cbranch_execz .LBB3_203
; %bb.186:                              ;   in Loop: Header=BB3_70 Depth=1
	v_accvgpr_read_b32 v37, a9
	v_accvgpr_read_b32 v36, a8
	flat_load_dword v23, v[36:37]
	v_mov_b32_e32 v54, v0
	s_waitcnt vmcnt(0) lgkmcnt(0)
	v_cmp_ngt_f32_e32 vcc, v23, v16
	s_and_saveexec_b64 s[44:45], vcc
	s_cbranch_execz .LBB3_202
; %bb.187:                              ;   in Loop: Header=BB3_70 Depth=1
	v_add_co_u32_e32 v36, vcc, v1, v56
	v_addc_co_u32_e32 v37, vcc, 0, v2, vcc
	flat_load_ubyte v36, v[36:37]
	v_mov_b32_e32 v54, v0
	s_waitcnt vmcnt(0) lgkmcnt(0)
	v_cmp_eq_u16_e32 vcc, 0, v36
	s_and_saveexec_b64 s[46:47], vcc
	s_cbranch_execz .LBB3_201
; %bb.188:                              ;   in Loop: Header=BB3_70 Depth=1
	v_add_co_u32_e32 v36, vcc, v5, v56
	v_addc_co_u32_e32 v37, vcc, 0, v6, vcc
	flat_load_ubyte v36, v[36:37]
	v_mov_b32_e32 v54, v0
	s_waitcnt vmcnt(0) lgkmcnt(0)
	v_cmp_eq_u16_e32 vcc, 0, v36
	s_and_saveexec_b64 s[48:49], vcc
	s_cbranch_execz .LBB3_200
; %bb.189:                              ;   in Loop: Header=BB3_70 Depth=1
	v_cmp_lt_i32_e32 vcc, v57, v13
	v_mov_b32_e32 v54, v51
	s_and_saveexec_b64 s[50:51], vcc
	s_cbranch_execz .LBB3_197
; %bb.190:                              ;   in Loop: Header=BB3_70 Depth=1
	v_add_u32_e32 v36, v57, v46
	v_ashrrev_i32_e32 v37, 31, v36
	v_lshlrev_b64 v[38:39], 2, v[36:37]
	v_add_co_u32_e32 v36, vcc, v3, v38
	v_addc_co_u32_e32 v37, vcc, v4, v39, vcc
	v_add_co_u32_e32 v38, vcc, v7, v38
	v_addc_co_u32_e32 v39, vcc, v8, v39, vcc
	s_mov_b64 s[52:53], 0
	v_accvgpr_write_b32 a0, v57
	v_mov_b32_e32 v54, v51
                                        ; implicit-def: $sgpr54_sgpr55
	s_branch .LBB3_193
.LBB3_191:                              ;   in Loop: Header=BB3_193 Depth=2
	s_or_b64 exec, exec, s[60:61]
	s_andn2_b64 vcc, s[54:55], exec
	s_and_b64 s[54:55], s[58:59], exec
	s_or_b64 s[54:55], vcc, s[54:55]
	v_accvgpr_mov_b32 a1, a0
.LBB3_192:                              ;   in Loop: Header=BB3_193 Depth=2
	s_or_b64 exec, exec, s[56:57]
	v_add_u32_e32 v57, 1, v57
	v_cmp_ge_i32_e32 vcc, v57, v13
	s_xor_b64 s[56:57], s[54:55], -1
	s_or_b64 s[56:57], s[56:57], vcc
	v_add_co_u32_e32 v36, vcc, 4, v36
	v_addc_co_u32_e32 v37, vcc, 0, v37, vcc
	v_add_co_u32_e32 v38, vcc, 4, v38
	v_addc_co_u32_e32 v39, vcc, 0, v39, vcc
	s_and_b64 vcc, exec, s[56:57]
	s_or_b64 s[52:53], vcc, s[52:53]
	v_accvgpr_mov_b32 a0, a1
	s_andn2_b64 exec, exec, s[52:53]
	s_cbranch_execz .LBB3_196
.LBB3_193:                              ;   Parent Loop BB3_70 Depth=1
                                        ; =>  This Inner Loop Header: Depth=2
	flat_load_dword v58, v[38:39]
	s_andn2_b64 s[54:55], s[54:55], exec
	v_accvgpr_write_b32 a1, v57
	s_waitcnt vmcnt(0) lgkmcnt(0)
	v_cmp_le_u32_e32 vcc, v58, v56
	s_and_saveexec_b64 s[56:57], vcc
	s_cbranch_execz .LBB3_192
; %bb.194:                              ;   in Loop: Header=BB3_193 Depth=2
	v_cmp_eq_u32_e32 vcc, v58, v56
	s_mov_b64 s[58:59], -1
	s_and_saveexec_b64 s[60:61], vcc
	s_cbranch_execz .LBB3_191
; %bb.195:                              ;   in Loop: Header=BB3_193 Depth=2
	flat_load_dword v54, v[36:37]
	s_xor_b64 s[58:59], exec, -1
	s_branch .LBB3_191
.LBB3_196:                              ;   in Loop: Header=BB3_70 Depth=1
	s_or_b64 exec, exec, s[52:53]
	v_accvgpr_read_b32 v57, a1
.LBB3_197:                              ;   in Loop: Header=BB3_70 Depth=1
	s_or_b64 exec, exec, s[50:51]
	s_waitcnt vmcnt(0) lgkmcnt(0)
	v_cmp_gt_f32_e32 vcc, v54, v23
	s_and_saveexec_b64 s[50:51], vcc
	s_cbranch_execz .LBB3_199
; %bb.198:                              ;   in Loop: Header=BB3_70 Depth=1
	v_accvgpr_read_b32 v37, a9
	v_accvgpr_read_b32 v36, a8
	v_mov_b32_e32 v23, v54
	flat_store_dword v[36:37], v54
.LBB3_199:                              ;   in Loop: Header=BB3_70 Depth=1
	s_or_b64 exec, exec, s[50:51]
	v_cmp_lt_f32_e32 vcc, v23, v45
	v_cndmask_b32_e32 v45, v45, v23, vcc
	v_cndmask_b32_e32 v47, v47, v56, vcc
	v_mov_b32_e32 v54, v56
.LBB3_200:                              ;   in Loop: Header=BB3_70 Depth=1
	s_or_b64 exec, exec, s[48:49]
.LBB3_201:                              ;   in Loop: Header=BB3_70 Depth=1
	s_or_b64 exec, exec, s[46:47]
.LBB3_202:                              ;   in Loop: Header=BB3_70 Depth=1
	s_or_b64 exec, exec, s[44:45]
.LBB3_203:                              ;   in Loop: Header=BB3_70 Depth=1
	s_or_b64 exec, exec, s[12:13]
	v_cmp_lt_i32_e32 vcc, -1, v44
	s_and_saveexec_b64 s[44:45], vcc
	s_cbranch_execz .LBB3_301
; %bb.204:                              ;   in Loop: Header=BB3_70 Depth=1
	v_cmp_ne_u32_e32 vcc, v44, v0
	v_accvgpr_write_b32 a0, v0
	s_and_saveexec_b64 s[12:13], vcc
	s_cbranch_execz .LBB3_222
; %bb.205:                              ;   in Loop: Header=BB3_70 Depth=1
	v_accvgpr_read_b32 v37, a11
	v_accvgpr_read_b32 v36, a10
	flat_load_dword v23, v[36:37]
	v_accvgpr_write_b32 a0, v0
	s_waitcnt vmcnt(0) lgkmcnt(0)
	v_cmp_ngt_f32_e32 vcc, v23, v16
	s_and_saveexec_b64 s[46:47], vcc
	s_cbranch_execz .LBB3_221
; %bb.206:                              ;   in Loop: Header=BB3_70 Depth=1
	v_add_co_u32_e32 v36, vcc, v1, v44
	v_addc_co_u32_e32 v37, vcc, 0, v2, vcc
	flat_load_ubyte v36, v[36:37]
	v_accvgpr_write_b32 a0, v0
	s_waitcnt vmcnt(0) lgkmcnt(0)
	v_cmp_eq_u16_e32 vcc, 0, v36
	s_and_saveexec_b64 s[48:49], vcc
	s_cbranch_execz .LBB3_220
; %bb.207:                              ;   in Loop: Header=BB3_70 Depth=1
	v_add_co_u32_e32 v36, vcc, v5, v44
	v_addc_co_u32_e32 v37, vcc, 0, v6, vcc
	flat_load_ubyte v36, v[36:37]
	v_accvgpr_write_b32 a0, v0
	s_waitcnt vmcnt(0) lgkmcnt(0)
	v_cmp_eq_u16_e32 vcc, 0, v36
	s_and_saveexec_b64 s[50:51], vcc
	s_cbranch_execz .LBB3_219
; %bb.208:                              ;   in Loop: Header=BB3_70 Depth=1
	v_cmp_lt_i32_e32 vcc, v57, v13
	v_mov_b32_e32 v56, v51
	s_and_saveexec_b64 s[52:53], vcc
	s_cbranch_execz .LBB3_216
; %bb.209:                              ;   in Loop: Header=BB3_70 Depth=1
	v_add_u32_e32 v36, v57, v46
	v_ashrrev_i32_e32 v37, 31, v36
	v_lshlrev_b64 v[38:39], 2, v[36:37]
	v_add_co_u32_e32 v36, vcc, v3, v38
	v_addc_co_u32_e32 v37, vcc, v4, v39, vcc
	v_add_co_u32_e32 v38, vcc, v7, v38
	v_addc_co_u32_e32 v39, vcc, v8, v39, vcc
	s_mov_b64 s[54:55], 0
	v_accvgpr_write_b32 a0, v57
	v_mov_b32_e32 v56, v51
                                        ; implicit-def: $sgpr56_sgpr57
	s_branch .LBB3_212
.LBB3_210:                              ;   in Loop: Header=BB3_212 Depth=2
	s_or_b64 exec, exec, s[62:63]
	s_andn2_b64 vcc, s[56:57], exec
	s_and_b64 s[56:57], s[60:61], exec
	s_or_b64 s[56:57], vcc, s[56:57]
	v_accvgpr_mov_b32 a1, a0
.LBB3_211:                              ;   in Loop: Header=BB3_212 Depth=2
	s_or_b64 exec, exec, s[58:59]
	v_add_u32_e32 v57, 1, v57
	v_cmp_ge_i32_e32 vcc, v57, v13
	s_xor_b64 s[58:59], s[56:57], -1
	s_or_b64 s[58:59], s[58:59], vcc
	v_add_co_u32_e32 v36, vcc, 4, v36
	v_addc_co_u32_e32 v37, vcc, 0, v37, vcc
	v_add_co_u32_e32 v38, vcc, 4, v38
	v_addc_co_u32_e32 v39, vcc, 0, v39, vcc
	s_and_b64 vcc, exec, s[58:59]
	s_or_b64 s[54:55], vcc, s[54:55]
	v_accvgpr_mov_b32 a0, a1
	s_andn2_b64 exec, exec, s[54:55]
	s_cbranch_execz .LBB3_215
.LBB3_212:                              ;   Parent Loop BB3_70 Depth=1
                                        ; =>  This Inner Loop Header: Depth=2
	flat_load_dword v58, v[38:39]
	s_andn2_b64 s[56:57], s[56:57], exec
	v_accvgpr_write_b32 a1, v57
	s_waitcnt vmcnt(0) lgkmcnt(0)
	v_cmp_le_u32_e32 vcc, v58, v44
	s_and_saveexec_b64 s[58:59], vcc
	s_cbranch_execz .LBB3_211
; %bb.213:                              ;   in Loop: Header=BB3_212 Depth=2
	v_cmp_eq_u32_e32 vcc, v58, v44
	s_mov_b64 s[60:61], -1
	s_and_saveexec_b64 s[62:63], vcc
	s_cbranch_execz .LBB3_210
; %bb.214:                              ;   in Loop: Header=BB3_212 Depth=2
	flat_load_dword v56, v[36:37]
	s_xor_b64 s[60:61], exec, -1
	s_branch .LBB3_210
.LBB3_215:                              ;   in Loop: Header=BB3_70 Depth=1
	s_or_b64 exec, exec, s[54:55]
	v_accvgpr_read_b32 v57, a1
.LBB3_216:                              ;   in Loop: Header=BB3_70 Depth=1
	s_or_b64 exec, exec, s[52:53]
	s_waitcnt vmcnt(0) lgkmcnt(0)
	v_cmp_gt_f32_e32 vcc, v56, v23
	s_and_saveexec_b64 s[52:53], vcc
	s_cbranch_execz .LBB3_218
; %bb.217:                              ;   in Loop: Header=BB3_70 Depth=1
	v_accvgpr_read_b32 v37, a11
	v_accvgpr_read_b32 v36, a10
	v_mov_b32_e32 v23, v56
	flat_store_dword v[36:37], v56
.LBB3_218:                              ;   in Loop: Header=BB3_70 Depth=1
	s_or_b64 exec, exec, s[52:53]
	v_cmp_lt_f32_e32 vcc, v23, v45
	v_cndmask_b32_e32 v45, v45, v23, vcc
	v_cndmask_b32_e32 v47, v47, v44, vcc
	v_accvgpr_write_b32 a0, v44
.LBB3_219:                              ;   in Loop: Header=BB3_70 Depth=1
	s_or_b64 exec, exec, s[50:51]
.LBB3_220:                              ;   in Loop: Header=BB3_70 Depth=1
	s_or_b64 exec, exec, s[48:49]
.LBB3_221:                              ;   in Loop: Header=BB3_70 Depth=1
	s_or_b64 exec, exec, s[46:47]
.LBB3_222:                              ;   in Loop: Header=BB3_70 Depth=1
	s_or_b64 exec, exec, s[12:13]
	v_cmp_lt_i32_e32 vcc, -1, v42
	s_and_saveexec_b64 s[46:47], vcc
	s_cbranch_execz .LBB3_300
; %bb.223:                              ;   in Loop: Header=BB3_70 Depth=1
	v_cmp_ne_u32_e32 vcc, v42, v0
	v_accvgpr_write_b32 a1, v0
	s_and_saveexec_b64 s[12:13], vcc
	s_cbranch_execz .LBB3_241
; %bb.224:                              ;   in Loop: Header=BB3_70 Depth=1
	v_accvgpr_read_b32 v37, a13
	v_accvgpr_read_b32 v36, a12
	flat_load_dword v23, v[36:37]
	v_accvgpr_write_b32 a1, v0
	s_waitcnt vmcnt(0) lgkmcnt(0)
	v_cmp_ngt_f32_e32 vcc, v23, v16
	s_and_saveexec_b64 s[48:49], vcc
	s_cbranch_execz .LBB3_240
; %bb.225:                              ;   in Loop: Header=BB3_70 Depth=1
	v_add_co_u32_e32 v36, vcc, v1, v42
	v_addc_co_u32_e32 v37, vcc, 0, v2, vcc
	flat_load_ubyte v36, v[36:37]
	v_accvgpr_write_b32 a1, v0
	s_waitcnt vmcnt(0) lgkmcnt(0)
	v_cmp_eq_u16_e32 vcc, 0, v36
	s_and_saveexec_b64 s[50:51], vcc
	s_cbranch_execz .LBB3_239
; %bb.226:                              ;   in Loop: Header=BB3_70 Depth=1
	v_add_co_u32_e32 v36, vcc, v5, v42
	v_addc_co_u32_e32 v37, vcc, 0, v6, vcc
	flat_load_ubyte v36, v[36:37]
	v_accvgpr_write_b32 a1, v0
	s_waitcnt vmcnt(0) lgkmcnt(0)
	v_cmp_eq_u16_e32 vcc, 0, v36
	s_and_saveexec_b64 s[52:53], vcc
	s_cbranch_execz .LBB3_238
; %bb.227:                              ;   in Loop: Header=BB3_70 Depth=1
	v_cmp_lt_i32_e32 vcc, v57, v13
	v_mov_b32_e32 v44, v51
	s_and_saveexec_b64 s[54:55], vcc
	s_cbranch_execz .LBB3_235
; %bb.228:                              ;   in Loop: Header=BB3_70 Depth=1
	v_add_u32_e32 v36, v57, v46
	v_ashrrev_i32_e32 v37, 31, v36
	v_lshlrev_b64 v[38:39], 2, v[36:37]
	v_add_co_u32_e32 v36, vcc, v3, v38
	v_addc_co_u32_e32 v37, vcc, v4, v39, vcc
	v_add_co_u32_e32 v38, vcc, v7, v38
	v_addc_co_u32_e32 v39, vcc, v8, v39, vcc
	s_mov_b64 s[56:57], 0
	v_accvgpr_write_b32 a1, v57
	v_mov_b32_e32 v44, v51
                                        ; implicit-def: $sgpr58_sgpr59
	s_branch .LBB3_231
.LBB3_229:                              ;   in Loop: Header=BB3_231 Depth=2
	s_or_b64 exec, exec, s[64:65]
	s_andn2_b64 vcc, s[58:59], exec
	s_and_b64 s[58:59], s[62:63], exec
	s_or_b64 s[58:59], vcc, s[58:59]
	v_accvgpr_mov_b32 a2, a1
.LBB3_230:                              ;   in Loop: Header=BB3_231 Depth=2
	s_or_b64 exec, exec, s[60:61]
	v_add_u32_e32 v57, 1, v57
	v_cmp_ge_i32_e32 vcc, v57, v13
	s_xor_b64 s[60:61], s[58:59], -1
	s_or_b64 s[60:61], s[60:61], vcc
	v_add_co_u32_e32 v36, vcc, 4, v36
	v_addc_co_u32_e32 v37, vcc, 0, v37, vcc
	v_add_co_u32_e32 v38, vcc, 4, v38
	v_addc_co_u32_e32 v39, vcc, 0, v39, vcc
	s_and_b64 vcc, exec, s[60:61]
	s_or_b64 s[56:57], vcc, s[56:57]
	v_accvgpr_mov_b32 a1, a2
	s_andn2_b64 exec, exec, s[56:57]
	s_cbranch_execz .LBB3_234
.LBB3_231:                              ;   Parent Loop BB3_70 Depth=1
                                        ; =>  This Inner Loop Header: Depth=2
	flat_load_dword v56, v[38:39]
	s_andn2_b64 s[58:59], s[58:59], exec
	v_accvgpr_write_b32 a2, v57
	s_waitcnt vmcnt(0) lgkmcnt(0)
	v_cmp_le_u32_e32 vcc, v56, v42
	s_and_saveexec_b64 s[60:61], vcc
	s_cbranch_execz .LBB3_230
; %bb.232:                              ;   in Loop: Header=BB3_231 Depth=2
	v_cmp_eq_u32_e32 vcc, v56, v42
	s_mov_b64 s[62:63], -1
	s_and_saveexec_b64 s[64:65], vcc
	s_cbranch_execz .LBB3_229
; %bb.233:                              ;   in Loop: Header=BB3_231 Depth=2
	flat_load_dword v44, v[36:37]
	s_xor_b64 s[62:63], exec, -1
	s_branch .LBB3_229
.LBB3_234:                              ;   in Loop: Header=BB3_70 Depth=1
	s_or_b64 exec, exec, s[56:57]
	v_accvgpr_read_b32 v57, a2
.LBB3_235:                              ;   in Loop: Header=BB3_70 Depth=1
	s_or_b64 exec, exec, s[54:55]
	s_waitcnt vmcnt(0) lgkmcnt(0)
	v_cmp_gt_f32_e32 vcc, v44, v23
	s_and_saveexec_b64 s[54:55], vcc
	s_cbranch_execz .LBB3_237
; %bb.236:                              ;   in Loop: Header=BB3_70 Depth=1
	v_accvgpr_read_b32 v37, a13
	v_accvgpr_read_b32 v36, a12
	v_mov_b32_e32 v23, v44
	flat_store_dword v[36:37], v44
.LBB3_237:                              ;   in Loop: Header=BB3_70 Depth=1
	s_or_b64 exec, exec, s[54:55]
	v_cmp_lt_f32_e32 vcc, v23, v45
	v_cndmask_b32_e32 v45, v45, v23, vcc
	v_cndmask_b32_e32 v47, v47, v42, vcc
	v_accvgpr_write_b32 a1, v42
.LBB3_238:                              ;   in Loop: Header=BB3_70 Depth=1
	s_or_b64 exec, exec, s[52:53]
.LBB3_239:                              ;   in Loop: Header=BB3_70 Depth=1
	s_or_b64 exec, exec, s[50:51]
.LBB3_240:                              ;   in Loop: Header=BB3_70 Depth=1
	s_or_b64 exec, exec, s[48:49]
.LBB3_241:                              ;   in Loop: Header=BB3_70 Depth=1
	s_or_b64 exec, exec, s[12:13]
	v_cmp_lt_i32_e32 vcc, -1, v40
	s_and_saveexec_b64 s[48:49], vcc
	s_cbranch_execz .LBB3_299
; %bb.242:                              ;   in Loop: Header=BB3_70 Depth=1
	v_cmp_ne_u32_e32 vcc, v40, v0
	v_accvgpr_write_b32 a2, v0
	s_and_saveexec_b64 s[12:13], vcc
                                        ; implicit-def: $vgpr62 : SGPR spill to VGPR lane
	s_cbranch_execz .LBB3_260
; %bb.243:                              ;   in Loop: Header=BB3_70 Depth=1
	v_accvgpr_read_b32 v37, a15
	v_accvgpr_read_b32 v36, a14
	flat_load_dword v23, v[36:37]
	v_accvgpr_write_b32 a2, v0
	s_waitcnt vmcnt(0) lgkmcnt(0)
	v_cmp_ngt_f32_e32 vcc, v23, v16
	s_and_saveexec_b64 s[50:51], vcc
	s_cbranch_execz .LBB3_259
; %bb.244:                              ;   in Loop: Header=BB3_70 Depth=1
	v_add_co_u32_e32 v36, vcc, v1, v40
	v_addc_co_u32_e32 v37, vcc, 0, v2, vcc
	flat_load_ubyte v36, v[36:37]
	v_accvgpr_write_b32 a2, v0
	s_waitcnt vmcnt(0) lgkmcnt(0)
	v_cmp_eq_u16_e32 vcc, 0, v36
	s_and_saveexec_b64 s[52:53], vcc
	s_cbranch_execz .LBB3_258
; %bb.245:                              ;   in Loop: Header=BB3_70 Depth=1
	v_add_co_u32_e32 v36, vcc, v5, v40
	v_addc_co_u32_e32 v37, vcc, 0, v6, vcc
	flat_load_ubyte v36, v[36:37]
	v_accvgpr_write_b32 a2, v0
	s_waitcnt vmcnt(0) lgkmcnt(0)
	v_cmp_eq_u16_e32 vcc, 0, v36
	s_and_saveexec_b64 s[54:55], vcc
	s_cbranch_execz .LBB3_257
; %bb.246:                              ;   in Loop: Header=BB3_70 Depth=1
	v_cmp_lt_i32_e32 vcc, v57, v13
	v_mov_b32_e32 v42, v51
	s_and_saveexec_b64 s[56:57], vcc
	s_mov_b64 vcc, s[56:57]
	s_cbranch_execz .LBB3_254
; %bb.247:                              ;   in Loop: Header=BB3_70 Depth=1
	v_add_u32_e32 v36, v57, v46
	v_ashrrev_i32_e32 v37, 31, v36
	v_writelane_b32 v62, vcc_lo, 0
	v_lshlrev_b64 v[38:39], 2, v[36:37]
	v_writelane_b32 v62, vcc_hi, 1
	v_add_co_u32_e32 v36, vcc, v3, v38
	v_addc_co_u32_e32 v37, vcc, v4, v39, vcc
	v_add_co_u32_e32 v38, vcc, v7, v38
	v_addc_co_u32_e32 v39, vcc, v8, v39, vcc
	s_mov_b64 s[56:57], 0
	v_accvgpr_write_b32 a2, v57
	v_mov_b32_e32 v42, v51
                                        ; implicit-def: $sgpr58_sgpr59
	s_branch .LBB3_250
.LBB3_248:                              ;   in Loop: Header=BB3_250 Depth=2
	s_or_b64 exec, exec, s[64:65]
	s_andn2_b64 vcc, s[58:59], exec
	s_and_b64 s[58:59], s[62:63], exec
	s_or_b64 s[58:59], vcc, s[58:59]
	v_accvgpr_mov_b32 a3, a2
.LBB3_249:                              ;   in Loop: Header=BB3_250 Depth=2
	s_or_b64 exec, exec, s[60:61]
	v_add_u32_e32 v57, 1, v57
	v_cmp_ge_i32_e32 vcc, v57, v13
	s_xor_b64 s[60:61], s[58:59], -1
	s_or_b64 s[60:61], s[60:61], vcc
	v_add_co_u32_e32 v36, vcc, 4, v36
	v_addc_co_u32_e32 v37, vcc, 0, v37, vcc
	v_add_co_u32_e32 v38, vcc, 4, v38
	v_addc_co_u32_e32 v39, vcc, 0, v39, vcc
	s_and_b64 vcc, exec, s[60:61]
	s_or_b64 s[56:57], vcc, s[56:57]
	v_accvgpr_mov_b32 a2, a3
	s_andn2_b64 exec, exec, s[56:57]
	s_cbranch_execz .LBB3_253
.LBB3_250:                              ;   Parent Loop BB3_70 Depth=1
                                        ; =>  This Inner Loop Header: Depth=2
	flat_load_dword v44, v[38:39]
	s_andn2_b64 s[58:59], s[58:59], exec
	v_accvgpr_write_b32 a3, v57
	s_waitcnt vmcnt(0) lgkmcnt(0)
	v_cmp_le_u32_e32 vcc, v44, v40
	s_and_saveexec_b64 s[60:61], vcc
	s_cbranch_execz .LBB3_249
; %bb.251:                              ;   in Loop: Header=BB3_250 Depth=2
	v_cmp_eq_u32_e32 vcc, v44, v40
	s_mov_b64 s[62:63], -1
	s_and_saveexec_b64 s[64:65], vcc
	s_cbranch_execz .LBB3_248
; %bb.252:                              ;   in Loop: Header=BB3_250 Depth=2
	flat_load_dword v42, v[36:37]
	s_xor_b64 s[62:63], exec, -1
	s_branch .LBB3_248
.LBB3_253:                              ;   in Loop: Header=BB3_70 Depth=1
	s_or_b64 exec, exec, s[56:57]
	v_readlane_b32 vcc_lo, v62, 0
	v_accvgpr_read_b32 v57, a3
	v_readlane_b32 vcc_hi, v62, 1
.LBB3_254:                              ;   in Loop: Header=BB3_70 Depth=1
	s_or_b64 exec, exec, vcc
	s_waitcnt vmcnt(0) lgkmcnt(0)
	v_cmp_gt_f32_e32 vcc, v42, v23
	s_and_saveexec_b64 s[56:57], vcc
	s_cbranch_execz .LBB3_256
; %bb.255:                              ;   in Loop: Header=BB3_70 Depth=1
	v_accvgpr_read_b32 v37, a15
	v_accvgpr_read_b32 v36, a14
	v_mov_b32_e32 v23, v42
	flat_store_dword v[36:37], v42
.LBB3_256:                              ;   in Loop: Header=BB3_70 Depth=1
	s_or_b64 exec, exec, s[56:57]
	v_cmp_lt_f32_e32 vcc, v23, v45
	v_cndmask_b32_e32 v45, v45, v23, vcc
	v_cndmask_b32_e32 v47, v47, v40, vcc
	v_accvgpr_write_b32 a2, v40
.LBB3_257:                              ;   in Loop: Header=BB3_70 Depth=1
	s_or_b64 exec, exec, s[54:55]
.LBB3_258:                              ;   in Loop: Header=BB3_70 Depth=1
	s_or_b64 exec, exec, s[52:53]
.LBB3_259:                              ;   in Loop: Header=BB3_70 Depth=1
	s_or_b64 exec, exec, s[50:51]
.LBB3_260:                              ;   in Loop: Header=BB3_70 Depth=1
	s_or_b64 exec, exec, s[12:13]
	v_cmp_lt_i32_e32 vcc, -1, v22
	s_and_saveexec_b64 s[50:51], vcc
	s_cbranch_execz .LBB3_298
; %bb.261:                              ;   in Loop: Header=BB3_70 Depth=1
	v_cmp_ne_u32_e32 vcc, v22, v0
	v_mov_b32_e32 v38, v0
	s_and_saveexec_b64 s[12:13], vcc
	s_cbranch_execz .LBB3_279
; %bb.262:                              ;   in Loop: Header=BB3_70 Depth=1
	v_accvgpr_read_b32 v37, a17
	v_accvgpr_read_b32 v36, a16
	flat_load_dword v23, v[36:37]
	v_mov_b32_e32 v38, v0
	s_waitcnt vmcnt(0) lgkmcnt(0)
	v_cmp_ngt_f32_e32 vcc, v23, v16
	s_and_saveexec_b64 s[52:53], vcc
	s_cbranch_execz .LBB3_278
; %bb.263:                              ;   in Loop: Header=BB3_70 Depth=1
	v_add_co_u32_e32 v36, vcc, v1, v22
	v_addc_co_u32_e32 v37, vcc, 0, v2, vcc
	flat_load_ubyte v36, v[36:37]
	v_mov_b32_e32 v38, v0
	s_waitcnt vmcnt(0) lgkmcnt(0)
	v_cmp_eq_u16_e32 vcc, 0, v36
	s_and_saveexec_b64 s[54:55], vcc
	s_mov_b64 vcc, s[54:55]
	s_cbranch_execz .LBB3_277
; %bb.264:                              ;   in Loop: Header=BB3_70 Depth=1
	v_writelane_b32 v62, vcc_lo, 2
	v_writelane_b32 v62, vcc_hi, 3
	v_add_co_u32_e32 v36, vcc, v5, v22
	v_addc_co_u32_e32 v37, vcc, 0, v6, vcc
	flat_load_ubyte v36, v[36:37]
	v_mov_b32_e32 v38, v0
	s_waitcnt vmcnt(0) lgkmcnt(0)
	v_cmp_eq_u16_e32 vcc, 0, v36
	s_and_saveexec_b64 s[54:55], vcc
	s_cbranch_execz .LBB3_276
; %bb.265:                              ;   in Loop: Header=BB3_70 Depth=1
	v_cmp_lt_i32_e32 vcc, v57, v13
	v_mov_b32_e32 v40, v51
	s_and_saveexec_b64 s[56:57], vcc
	s_mov_b64 vcc, s[56:57]
	s_cbranch_execz .LBB3_273
; %bb.266:                              ;   in Loop: Header=BB3_70 Depth=1
	v_add_u32_e32 v36, v57, v46
	v_ashrrev_i32_e32 v37, 31, v36
	v_writelane_b32 v62, vcc_lo, 4
	v_lshlrev_b64 v[38:39], 2, v[36:37]
	v_writelane_b32 v62, vcc_hi, 5
	v_add_co_u32_e32 v36, vcc, v3, v38
	v_addc_co_u32_e32 v37, vcc, v4, v39, vcc
	v_add_co_u32_e32 v38, vcc, v7, v38
	v_addc_co_u32_e32 v39, vcc, v8, v39, vcc
	s_mov_b64 s[56:57], 0
	v_accvgpr_write_b32 a3, v57
	v_mov_b32_e32 v40, v51
                                        ; implicit-def: $sgpr58_sgpr59
	s_branch .LBB3_269
.LBB3_267:                              ;   in Loop: Header=BB3_269 Depth=2
	s_or_b64 exec, exec, s[64:65]
	s_andn2_b64 vcc, s[58:59], exec
	s_and_b64 s[58:59], s[62:63], exec
	s_or_b64 s[58:59], vcc, s[58:59]
	v_accvgpr_mov_b32 a4, a3
.LBB3_268:                              ;   in Loop: Header=BB3_269 Depth=2
	s_or_b64 exec, exec, s[60:61]
	v_add_u32_e32 v57, 1, v57
	v_cmp_ge_i32_e32 vcc, v57, v13
	s_xor_b64 s[60:61], s[58:59], -1
	s_or_b64 s[60:61], s[60:61], vcc
	v_add_co_u32_e32 v36, vcc, 4, v36
	v_addc_co_u32_e32 v37, vcc, 0, v37, vcc
	v_add_co_u32_e32 v38, vcc, 4, v38
	v_addc_co_u32_e32 v39, vcc, 0, v39, vcc
	s_and_b64 vcc, exec, s[60:61]
	s_or_b64 s[56:57], vcc, s[56:57]
	v_accvgpr_mov_b32 a3, a4
	s_andn2_b64 exec, exec, s[56:57]
	s_cbranch_execz .LBB3_272
.LBB3_269:                              ;   Parent Loop BB3_70 Depth=1
                                        ; =>  This Inner Loop Header: Depth=2
	flat_load_dword v42, v[38:39]
	s_andn2_b64 s[58:59], s[58:59], exec
	v_accvgpr_write_b32 a4, v57
	s_waitcnt vmcnt(0) lgkmcnt(0)
	v_cmp_le_u32_e32 vcc, v42, v22
	s_and_saveexec_b64 s[60:61], vcc
	s_cbranch_execz .LBB3_268
; %bb.270:                              ;   in Loop: Header=BB3_269 Depth=2
	v_cmp_eq_u32_e32 vcc, v42, v22
	s_mov_b64 s[62:63], -1
	s_and_saveexec_b64 s[64:65], vcc
	s_cbranch_execz .LBB3_267
; %bb.271:                              ;   in Loop: Header=BB3_269 Depth=2
	flat_load_dword v40, v[36:37]
	s_xor_b64 s[62:63], exec, -1
	s_branch .LBB3_267
.LBB3_272:                              ;   in Loop: Header=BB3_70 Depth=1
	s_or_b64 exec, exec, s[56:57]
	v_readlane_b32 vcc_lo, v62, 4
	v_accvgpr_read_b32 v57, a4
	v_readlane_b32 vcc_hi, v62, 5
.LBB3_273:                              ;   in Loop: Header=BB3_70 Depth=1
	s_or_b64 exec, exec, vcc
	s_waitcnt vmcnt(0) lgkmcnt(0)
	v_cmp_gt_f32_e32 vcc, v40, v23
	s_and_saveexec_b64 s[56:57], vcc
	s_cbranch_execz .LBB3_275
; %bb.274:                              ;   in Loop: Header=BB3_70 Depth=1
	v_accvgpr_read_b32 v37, a17
	v_accvgpr_read_b32 v36, a16
	v_mov_b32_e32 v23, v40
	flat_store_dword v[36:37], v40
.LBB3_275:                              ;   in Loop: Header=BB3_70 Depth=1
	s_or_b64 exec, exec, s[56:57]
	v_cmp_lt_f32_e32 vcc, v23, v45
	v_cndmask_b32_e32 v45, v45, v23, vcc
	v_cndmask_b32_e32 v47, v47, v22, vcc
	v_mov_b32_e32 v38, v22
.LBB3_276:                              ;   in Loop: Header=BB3_70 Depth=1
	s_or_b64 exec, exec, s[54:55]
	v_readlane_b32 vcc_lo, v62, 2
	v_readlane_b32 vcc_hi, v62, 3
.LBB3_277:                              ;   in Loop: Header=BB3_70 Depth=1
	s_or_b64 exec, exec, vcc
.LBB3_278:                              ;   in Loop: Header=BB3_70 Depth=1
	s_or_b64 exec, exec, s[52:53]
.LBB3_279:                              ;   in Loop: Header=BB3_70 Depth=1
	s_or_b64 exec, exec, s[12:13]
	s_waitcnt vmcnt(0)
	v_cmp_lt_i32_e32 vcc, -1, v20
	v_cmp_ne_u32_e64 s[12:13], v20, v0
	s_and_b64 vcc, vcc, s[12:13]
	s_and_saveexec_b64 s[12:13], vcc
	s_cbranch_execz .LBB3_297
; %bb.280:                              ;   in Loop: Header=BB3_70 Depth=1
	v_accvgpr_read_b32 v23, a19
	v_accvgpr_read_b32 v22, a18
	flat_load_dword v39, v[22:23]
	v_mov_b32_e32 v22, v0
	s_waitcnt vmcnt(0) lgkmcnt(0)
	v_cmp_ngt_f32_e32 vcc, v39, v16
	s_and_saveexec_b64 s[52:53], vcc
	s_cbranch_execz .LBB3_296
; %bb.281:                              ;   in Loop: Header=BB3_70 Depth=1
	v_add_co_u32_e32 v22, vcc, v1, v20
	v_addc_co_u32_e32 v23, vcc, 0, v2, vcc
	flat_load_ubyte v22, v[22:23]
	s_waitcnt vmcnt(0) lgkmcnt(0)
	v_cmp_eq_u16_e32 vcc, 0, v22
	v_mov_b32_e32 v22, v0
	s_and_saveexec_b64 s[54:55], vcc
	s_mov_b64 vcc, s[54:55]
	s_cbranch_execz .LBB3_295
; %bb.282:                              ;   in Loop: Header=BB3_70 Depth=1
	v_writelane_b32 v62, vcc_lo, 6
	v_writelane_b32 v62, vcc_hi, 7
	v_add_co_u32_e32 v22, vcc, v5, v20
	v_addc_co_u32_e32 v23, vcc, 0, v6, vcc
	flat_load_ubyte v22, v[22:23]
	s_waitcnt vmcnt(0) lgkmcnt(0)
	v_cmp_eq_u16_e32 vcc, 0, v22
	v_mov_b32_e32 v22, v0
	s_and_saveexec_b64 s[54:55], vcc
	s_cbranch_execz .LBB3_294
; %bb.283:                              ;   in Loop: Header=BB3_70 Depth=1
	v_cmp_lt_i32_e32 vcc, v57, v13
	v_mov_b32_e32 v40, v51
	s_and_saveexec_b64 s[56:57], vcc
	s_mov_b64 vcc, s[56:57]
	s_cbranch_execz .LBB3_291
; %bb.284:                              ;   in Loop: Header=BB3_70 Depth=1
	v_add_u32_e32 v22, v57, v46
	v_ashrrev_i32_e32 v23, 31, v22
	v_writelane_b32 v62, vcc_lo, 8
	v_lshlrev_b64 v[36:37], 2, v[22:23]
	v_writelane_b32 v62, vcc_hi, 9
	v_add_co_u32_e32 v22, vcc, v3, v36
	v_addc_co_u32_e32 v23, vcc, v4, v37, vcc
	v_add_co_u32_e32 v36, vcc, v7, v36
	v_addc_co_u32_e32 v37, vcc, v8, v37, vcc
	s_mov_b64 s[56:57], 0
	v_accvgpr_write_b32 a3, v57
	v_mov_b32_e32 v40, v51
                                        ; implicit-def: $sgpr58_sgpr59
	s_branch .LBB3_287
.LBB3_285:                              ;   in Loop: Header=BB3_287 Depth=2
	s_or_b64 exec, exec, s[64:65]
	s_andn2_b64 vcc, s[58:59], exec
	s_and_b64 s[58:59], s[62:63], exec
	s_or_b64 s[58:59], vcc, s[58:59]
	v_accvgpr_mov_b32 a4, a3
.LBB3_286:                              ;   in Loop: Header=BB3_287 Depth=2
	s_or_b64 exec, exec, s[60:61]
	v_add_u32_e32 v57, 1, v57
	v_cmp_ge_i32_e32 vcc, v57, v13
	s_xor_b64 s[60:61], s[58:59], -1
	s_or_b64 s[60:61], s[60:61], vcc
	v_add_co_u32_e32 v22, vcc, 4, v22
	v_addc_co_u32_e32 v23, vcc, 0, v23, vcc
	v_add_co_u32_e32 v36, vcc, 4, v36
	v_addc_co_u32_e32 v37, vcc, 0, v37, vcc
	s_and_b64 vcc, exec, s[60:61]
	s_or_b64 s[56:57], vcc, s[56:57]
	v_accvgpr_mov_b32 a3, a4
	s_andn2_b64 exec, exec, s[56:57]
	s_cbranch_execz .LBB3_290
.LBB3_287:                              ;   Parent Loop BB3_70 Depth=1
                                        ; =>  This Inner Loop Header: Depth=2
	flat_load_dword v42, v[36:37]
	s_andn2_b64 s[58:59], s[58:59], exec
	v_accvgpr_write_b32 a4, v57
	s_waitcnt vmcnt(0) lgkmcnt(0)
	v_cmp_le_u32_e32 vcc, v42, v20
	s_and_saveexec_b64 s[60:61], vcc
	s_cbranch_execz .LBB3_286
; %bb.288:                              ;   in Loop: Header=BB3_287 Depth=2
	v_cmp_eq_u32_e32 vcc, v42, v20
	s_mov_b64 s[62:63], -1
	s_and_saveexec_b64 s[64:65], vcc
	s_cbranch_execz .LBB3_285
; %bb.289:                              ;   in Loop: Header=BB3_287 Depth=2
	flat_load_dword v40, v[22:23]
	s_xor_b64 s[62:63], exec, -1
	s_branch .LBB3_285
.LBB3_290:                              ;   in Loop: Header=BB3_70 Depth=1
	s_or_b64 exec, exec, s[56:57]
	v_readlane_b32 vcc_lo, v62, 8
	v_accvgpr_read_b32 v57, a4
	v_readlane_b32 vcc_hi, v62, 9
.LBB3_291:                              ;   in Loop: Header=BB3_70 Depth=1
	s_or_b64 exec, exec, vcc
	s_waitcnt vmcnt(0) lgkmcnt(0)
	v_cmp_gt_f32_e32 vcc, v40, v39
	s_and_saveexec_b64 s[56:57], vcc
	s_cbranch_execz .LBB3_293
; %bb.292:                              ;   in Loop: Header=BB3_70 Depth=1
	v_accvgpr_read_b32 v23, a19
	v_accvgpr_read_b32 v22, a18
	v_mov_b32_e32 v39, v40
	flat_store_dword v[22:23], v40
.LBB3_293:                              ;   in Loop: Header=BB3_70 Depth=1
	s_or_b64 exec, exec, s[56:57]
	v_cmp_lt_f32_e32 vcc, v39, v45
	v_cndmask_b32_e32 v45, v45, v39, vcc
	v_cndmask_b32_e32 v47, v47, v20, vcc
	v_mov_b32_e32 v22, v20
.LBB3_294:                              ;   in Loop: Header=BB3_70 Depth=1
	s_or_b64 exec, exec, s[54:55]
	v_readlane_b32 vcc_lo, v62, 6
	v_readlane_b32 vcc_hi, v62, 7
.LBB3_295:                              ;   in Loop: Header=BB3_70 Depth=1
	s_or_b64 exec, exec, vcc
.LBB3_296:                              ;   in Loop: Header=BB3_70 Depth=1
	s_or_b64 exec, exec, s[52:53]
	v_mov_b32_e32 v20, v22
.LBB3_297:                              ;   in Loop: Header=BB3_70 Depth=1
	s_or_b64 exec, exec, s[12:13]
	v_mov_b32_e32 v22, v38
.LBB3_298:                              ;   in Loop: Header=BB3_70 Depth=1
	s_or_b64 exec, exec, s[50:51]
	v_accvgpr_read_b32 v40, a2
.LBB3_299:                              ;   in Loop: Header=BB3_70 Depth=1
	s_or_b64 exec, exec, s[48:49]
	v_accvgpr_read_b32 v42, a1
.LBB3_300:                              ;   in Loop: Header=BB3_70 Depth=1
	s_or_b64 exec, exec, s[46:47]
	v_accvgpr_read_b32 v44, a0
.LBB3_301:                              ;   in Loop: Header=BB3_70 Depth=1
	s_or_b64 exec, exec, s[44:45]
	v_mov_b32_e32 v56, v54
.LBB3_302:                              ;   in Loop: Header=BB3_70 Depth=1
	s_or_b64 exec, exec, s[42:43]
	v_mov_b32_e32 v58, v52
.LBB3_303:                              ;   in Loop: Header=BB3_70 Depth=1
	s_or_b64 exec, exec, s[40:41]
	v_mov_b32_e32 v60, v50
.LBB3_304:                              ;   in Loop: Header=BB3_70 Depth=1
	s_or_b64 exec, exec, s[38:39]
	v_mov_b32_e32 v52, v48
.LBB3_305:                              ;   in Loop: Header=BB3_70 Depth=1
	s_or_b64 exec, exec, s[36:37]
	v_mov_b32_e32 v50, v35
.LBB3_306:                              ;   in Loop: Header=BB3_70 Depth=1
	s_or_b64 exec, exec, s[34:35]
	v_mov_b32_e32 v54, v34
.LBB3_307:                              ;   in Loop: Header=BB3_70 Depth=1
	s_or_b64 exec, exec, s[30:31]
	v_mov_b32_e32 v48, v12
.LBB3_308:                              ;   in Loop: Header=BB3_70 Depth=1
	s_or_b64 exec, exec, s[28:29]
	s_waitcnt lgkmcnt(0)
	s_barrier
	s_and_saveexec_b64 s[12:13], s[8:9]
	s_cbranch_execz .LBB3_332
; %bb.309:                              ;   in Loop: Header=BB3_70 Depth=1
	s_mov_b32 s19, 12
	s_mov_b64 s[28:29], 0
	v_mov_b32_e32 v36, v53
                                        ; implicit-def: $sgpr30_sgpr31
	s_branch .LBB3_316
.LBB3_310:                              ;   in Loop: Header=BB3_316 Depth=2
	s_or_b64 exec, exec, s[44:45]
	v_cmp_lt_f32_e32 vcc, v23, v45
	v_cndmask_b32_e32 v45, v45, v23, vcc
	v_cndmask_b32_e32 v47, v47, v12, vcc
.LBB3_311:                              ;   in Loop: Header=BB3_316 Depth=2
	s_or_b64 exec, exec, s[42:43]
.LBB3_312:                              ;   in Loop: Header=BB3_316 Depth=2
	s_or_b64 exec, exec, s[40:41]
.LBB3_313:                              ;   in Loop: Header=BB3_316 Depth=2
	s_or_b64 exec, exec, s[38:39]
.LBB3_314:                              ;   in Loop: Header=BB3_316 Depth=2
	s_or_b64 exec, exec, s[36:37]
	s_add_i32 s19, s19, 1
	s_mul_i32 vcc_lo, s19, s14
	v_add_u32_e32 v36, vcc_lo, v18
	v_cmp_ge_i32_e32 vcc, v36, v13
	s_andn2_b64 s[30:31], s[30:31], exec
	s_and_b64 vcc, vcc, exec
	s_or_b64 s[30:31], s[30:31], vcc
.LBB3_315:                              ;   in Loop: Header=BB3_316 Depth=2
	s_or_b64 exec, exec, s[34:35]
	s_and_b64 vcc, exec, s[30:31]
	s_or_b64 s[28:29], vcc, s[28:29]
	s_andn2_b64 exec, exec, s[28:29]
	s_cbranch_execz .LBB3_331
.LBB3_316:                              ;   Parent Loop BB3_70 Depth=1
                                        ; =>  This Loop Header: Depth=2
                                        ;       Child Loop BB3_325 Depth 3
	v_add_u32_e32 v34, v36, v17
	v_ashrrev_i32_e32 v35, 31, v34
	v_lshlrev_b64 v[34:35], 2, v[34:35]
	v_add_co_u32_e32 v34, vcc, v7, v34
	v_addc_co_u32_e32 v35, vcc, v8, v35, vcc
	flat_load_dword v12, v[34:35]
	s_or_b64 s[30:31], s[30:31], exec
	s_waitcnt vmcnt(0) lgkmcnt(0)
	v_cmp_lt_i32_e32 vcc, -1, v12
	s_and_saveexec_b64 s[34:35], vcc
	s_cbranch_execz .LBB3_315
; %bb.317:                              ;   in Loop: Header=BB3_316 Depth=2
	v_cmp_ne_u32_e32 vcc, v12, v0
	s_and_saveexec_b64 s[36:37], vcc
	s_cbranch_execz .LBB3_314
; %bb.318:                              ;   in Loop: Header=BB3_316 Depth=2
	v_ashrrev_i32_e32 v37, 31, v36
	v_lshlrev_b64 v[34:35], 2, v[36:37]
	v_add_co_u32_e32 v38, vcc, v9, v34
	v_addc_co_u32_e32 v39, vcc, v10, v35, vcc
	flat_load_dword v23, v[38:39]
	s_waitcnt vmcnt(0) lgkmcnt(0)
	v_cmp_ngt_f32_e32 vcc, v23, v16
	s_and_saveexec_b64 s[38:39], vcc
	s_cbranch_execz .LBB3_313
; %bb.319:                              ;   in Loop: Header=BB3_316 Depth=2
	v_add_co_u32_e32 v34, vcc, v1, v12
	v_addc_co_u32_e32 v35, vcc, 0, v2, vcc
	flat_load_ubyte v34, v[34:35]
	s_waitcnt vmcnt(0) lgkmcnt(0)
	v_cmp_eq_u16_e32 vcc, 0, v34
	s_and_saveexec_b64 s[40:41], vcc
	s_cbranch_execz .LBB3_312
; %bb.320:                              ;   in Loop: Header=BB3_316 Depth=2
	v_add_co_u32_e32 v34, vcc, v5, v12
	v_addc_co_u32_e32 v35, vcc, 0, v6, vcc
	flat_load_ubyte v34, v[34:35]
	s_waitcnt vmcnt(0) lgkmcnt(0)
	v_cmp_eq_u16_e32 vcc, 0, v34
	s_and_saveexec_b64 s[42:43], vcc
	s_cbranch_execz .LBB3_311
; %bb.321:                              ;   in Loop: Header=BB3_316 Depth=2
	v_cmp_lt_i32_e32 vcc, v57, v13
	v_mov_b32_e32 v59, v51
	s_and_saveexec_b64 s[44:45], vcc
	s_cbranch_execz .LBB3_329
; %bb.322:                              ;   in Loop: Header=BB3_316 Depth=2
	v_add_u32_e32 v34, v46, v57
	v_ashrrev_i32_e32 v35, 31, v34
	v_lshlrev_b64 v[34:35], 2, v[34:35]
	v_add_co_u32_e32 v36, vcc, v3, v34
	v_addc_co_u32_e32 v37, vcc, v4, v35, vcc
	v_add_co_u32_e32 v34, vcc, v7, v34
	v_addc_co_u32_e32 v35, vcc, v8, v35, vcc
	s_mov_b64 s[46:47], 0
	v_accvgpr_write_b32 a0, v57
	v_mov_b32_e32 v59, v51
                                        ; implicit-def: $sgpr48_sgpr49
	s_branch .LBB3_325
.LBB3_323:                              ;   in Loop: Header=BB3_325 Depth=3
	s_or_b64 exec, exec, s[54:55]
	s_andn2_b64 vcc, s[48:49], exec
	s_and_b64 s[48:49], s[52:53], exec
	s_or_b64 s[48:49], vcc, s[48:49]
	v_accvgpr_mov_b32 a1, a0
.LBB3_324:                              ;   in Loop: Header=BB3_325 Depth=3
	s_or_b64 exec, exec, s[50:51]
	v_add_u32_e32 v57, 1, v57
	v_cmp_ge_i32_e32 vcc, v57, v13
	s_xor_b64 s[50:51], s[48:49], -1
	s_or_b64 s[50:51], s[50:51], vcc
	v_add_co_u32_e32 v36, vcc, 4, v36
	v_addc_co_u32_e32 v37, vcc, 0, v37, vcc
	v_add_co_u32_e32 v34, vcc, 4, v34
	v_addc_co_u32_e32 v35, vcc, 0, v35, vcc
	s_and_b64 vcc, exec, s[50:51]
	s_or_b64 s[46:47], vcc, s[46:47]
	v_accvgpr_mov_b32 a0, a1
	s_andn2_b64 exec, exec, s[46:47]
	s_cbranch_execz .LBB3_328
.LBB3_325:                              ;   Parent Loop BB3_70 Depth=1
                                        ;     Parent Loop BB3_316 Depth=2
                                        ; =>    This Inner Loop Header: Depth=3
	flat_load_dword v61, v[34:35]
	s_andn2_b64 s[48:49], s[48:49], exec
	v_accvgpr_write_b32 a1, v57
	s_waitcnt vmcnt(0) lgkmcnt(0)
	v_cmp_le_u32_e32 vcc, v61, v12
	s_and_saveexec_b64 s[50:51], vcc
	s_cbranch_execz .LBB3_324
; %bb.326:                              ;   in Loop: Header=BB3_325 Depth=3
	v_cmp_eq_u32_e32 vcc, v61, v12
	s_mov_b64 s[52:53], -1
	s_and_saveexec_b64 s[54:55], vcc
	s_cbranch_execz .LBB3_323
; %bb.327:                              ;   in Loop: Header=BB3_325 Depth=3
	flat_load_dword v59, v[36:37]
	s_xor_b64 s[52:53], exec, -1
	s_branch .LBB3_323
.LBB3_328:                              ;   in Loop: Header=BB3_316 Depth=2
	s_or_b64 exec, exec, s[46:47]
	v_accvgpr_read_b32 v57, a1
.LBB3_329:                              ;   in Loop: Header=BB3_316 Depth=2
	s_or_b64 exec, exec, s[44:45]
	s_waitcnt vmcnt(0) lgkmcnt(0)
	v_cmp_gt_f32_e32 vcc, v59, v23
	s_and_saveexec_b64 s[44:45], vcc
	s_cbranch_execz .LBB3_310
; %bb.330:                              ;   in Loop: Header=BB3_316 Depth=2
	v_mov_b32_e32 v23, v59
	flat_store_dword v[38:39], v59
	s_branch .LBB3_310
.LBB3_331:                              ;   in Loop: Header=BB3_70 Depth=1
	s_or_b64 exec, exec, s[28:29]
.LBB3_332:                              ;   in Loop: Header=BB3_70 Depth=1
	s_or_b64 exec, exec, s[12:13]
	s_waitcnt lgkmcnt(0)
	s_barrier
	ds_write_b32 v21, v45
	ds_write_b32 v55, v47
	s_waitcnt lgkmcnt(0)
	s_barrier
	s_and_saveexec_b64 s[12:13], s[4:5]
	s_cbranch_execz .LBB3_384
; %bb.333:                              ;   in Loop: Header=BB3_70 Depth=1
	s_andn2_b64 vcc, exec, s[22:23]
	s_cbranch_vccnz .LBB3_382
; %bb.334:                              ;   in Loop: Header=BB3_70 Depth=1
	ds_read_b32 v12, v49 offset:256
	s_andn2_b64 vcc, exec, s[24:25]
	s_mov_b32 s19, 1
	s_cbranch_vccnz .LBB3_371
; %bb.335:                              ;   in Loop: Header=BB3_70 Depth=1
	s_mov_b32 s36, 0
	s_mov_b32 s19, 4
.LBB3_336:                              ;   Parent Loop BB3_70 Depth=1
                                        ; =>  This Inner Loop Header: Depth=2
	v_mov_b32_e32 v23, s19
	ds_read_b32 v23, v23
	s_mov_b64 s[28:29], 0
                                        ; implicit-def: $vgpr34
	s_waitcnt lgkmcnt(0)
	v_cmp_nlt_f32_e32 vcc, v23, v45
	s_and_saveexec_b64 s[30:31], vcc
	s_xor_b64 s[30:31], exec, s[30:31]
	s_cbranch_execnz .LBB3_354
; %bb.337:                              ;   in Loop: Header=BB3_336 Depth=2
	s_andn2_saveexec_b64 vcc, s[30:31]
	s_cbranch_execnz .LBB3_357
.LBB3_338:                              ;   in Loop: Header=BB3_336 Depth=2
	s_or_b64 exec, exec, vcc
	s_and_saveexec_b64 vcc, s[28:29]
	s_cbranch_execz .LBB3_340
.LBB3_339:                              ;   in Loop: Header=BB3_336 Depth=2
	s_waitcnt lgkmcnt(0)
	v_mov_b32_e32 v12, v34
	v_mov_b32_e32 v45, v23
	ds_write_b32 v49, v34 offset:256
.LBB3_340:                              ;   in Loop: Header=BB3_336 Depth=2
	s_or_b64 exec, exec, vcc
	v_mov_b32_e32 v23, s19
	ds_read_b32 v23, v23 offset:4
	s_mov_b64 s[28:29], 0
                                        ; implicit-def: $vgpr34
	s_waitcnt lgkmcnt(0)
	v_cmp_nlt_f32_e32 vcc, v23, v45
	s_and_saveexec_b64 s[30:31], vcc
	s_xor_b64 s[30:31], exec, s[30:31]
	s_cbranch_execnz .LBB3_358
; %bb.341:                              ;   in Loop: Header=BB3_336 Depth=2
	s_andn2_saveexec_b64 vcc, s[30:31]
	s_cbranch_execnz .LBB3_361
.LBB3_342:                              ;   in Loop: Header=BB3_336 Depth=2
	s_or_b64 exec, exec, vcc
	s_and_saveexec_b64 vcc, s[28:29]
	s_cbranch_execz .LBB3_344
.LBB3_343:                              ;   in Loop: Header=BB3_336 Depth=2
	s_waitcnt lgkmcnt(0)
	v_mov_b32_e32 v12, v34
	v_mov_b32_e32 v45, v23
	ds_write_b32 v49, v34 offset:256
.LBB3_344:                              ;   in Loop: Header=BB3_336 Depth=2
	s_or_b64 exec, exec, vcc
	v_mov_b32_e32 v23, s19
	ds_read_b32 v23, v23 offset:8
	s_mov_b64 s[28:29], 0
                                        ; implicit-def: $vgpr34
	s_waitcnt lgkmcnt(0)
	v_cmp_nlt_f32_e32 vcc, v23, v45
	s_and_saveexec_b64 s[30:31], vcc
	s_xor_b64 s[30:31], exec, s[30:31]
	s_cbranch_execnz .LBB3_362
; %bb.345:                              ;   in Loop: Header=BB3_336 Depth=2
	s_andn2_saveexec_b64 vcc, s[30:31]
	s_cbranch_execnz .LBB3_365
.LBB3_346:                              ;   in Loop: Header=BB3_336 Depth=2
	s_or_b64 exec, exec, vcc
	s_and_saveexec_b64 vcc, s[28:29]
	s_cbranch_execz .LBB3_348
.LBB3_347:                              ;   in Loop: Header=BB3_336 Depth=2
	s_waitcnt lgkmcnt(0)
	v_mov_b32_e32 v12, v34
	v_mov_b32_e32 v45, v23
	ds_write_b32 v49, v34 offset:256
.LBB3_348:                              ;   in Loop: Header=BB3_336 Depth=2
	s_or_b64 exec, exec, vcc
	v_mov_b32_e32 v23, s19
	ds_read_b32 v23, v23 offset:12
	s_mov_b64 s[28:29], 0
                                        ; implicit-def: $vgpr34
	s_waitcnt lgkmcnt(0)
	v_cmp_nlt_f32_e32 vcc, v23, v45
	s_and_saveexec_b64 s[30:31], vcc
	s_xor_b64 s[30:31], exec, s[30:31]
	s_cbranch_execnz .LBB3_366
; %bb.349:                              ;   in Loop: Header=BB3_336 Depth=2
	s_andn2_saveexec_b64 vcc, s[30:31]
	s_cbranch_execnz .LBB3_369
.LBB3_350:                              ;   in Loop: Header=BB3_336 Depth=2
	s_or_b64 exec, exec, vcc
	s_and_saveexec_b64 vcc, s[28:29]
	s_cbranch_execz .LBB3_352
.LBB3_351:                              ;   in Loop: Header=BB3_336 Depth=2
	s_waitcnt lgkmcnt(0)
	v_mov_b32_e32 v12, v34
	v_mov_b32_e32 v45, v23
	ds_write_b32 v49, v34 offset:256
.LBB3_352:                              ;   in Loop: Header=BB3_336 Depth=2
	s_or_b64 exec, exec, vcc
	s_add_i32 s28, s36, 4
	s_add_i32 s19, s19, 16
	s_cmp_eq_u32 s66, s28
	s_cbranch_scc1 .LBB3_370
; %bb.353:                              ;   in Loop: Header=BB3_336 Depth=2
	s_mov_b32 s36, s28
	s_branch .LBB3_336
.LBB3_354:                              ;   in Loop: Header=BB3_336 Depth=2
	v_cmp_eq_f32_e32 vcc, v23, v45
                                        ; implicit-def: $vgpr34
	s_and_saveexec_b64 s[34:35], vcc
	s_xor_b64 s[34:35], exec, s[34:35]
	s_cbranch_execz .LBB3_356
; %bb.355:                              ;   in Loop: Header=BB3_336 Depth=2
	v_mov_b32_e32 v34, s19
	ds_read_b32 v34, v34 offset:256
	s_waitcnt lgkmcnt(0)
	v_cmp_lt_i32_e32 vcc, v34, v12
	s_and_b64 s[28:29], vcc, exec
.LBB3_356:                              ;   in Loop: Header=BB3_336 Depth=2
	s_or_b64 exec, exec, s[34:35]
	s_and_b64 s[28:29], s[28:29], exec
	s_andn2_saveexec_b64 vcc, s[30:31]
	s_cbranch_execz .LBB3_338
.LBB3_357:                              ;   in Loop: Header=BB3_336 Depth=2
	v_mov_b32_e32 v12, s19
	ds_read_b32 v34, v12 offset:256
	s_or_b64 s[28:29], s[28:29], exec
                                        ; implicit-def: $vgpr45
                                        ; implicit-def: $vgpr12
	s_or_b64 exec, exec, vcc
	s_and_saveexec_b64 vcc, s[28:29]
	s_cbranch_execnz .LBB3_339
	s_branch .LBB3_340
.LBB3_358:                              ;   in Loop: Header=BB3_336 Depth=2
	v_cmp_eq_f32_e32 vcc, v23, v45
                                        ; implicit-def: $vgpr34
	s_and_saveexec_b64 s[34:35], vcc
	s_cbranch_execz .LBB3_360
; %bb.359:                              ;   in Loop: Header=BB3_336 Depth=2
	v_mov_b32_e32 v34, s19
	ds_read_b32 v34, v34 offset:260
	s_waitcnt lgkmcnt(0)
	v_cmp_lt_i32_e32 vcc, v34, v12
	s_and_b64 s[28:29], vcc, exec
.LBB3_360:                              ;   in Loop: Header=BB3_336 Depth=2
	s_or_b64 exec, exec, s[34:35]
	s_and_b64 s[28:29], s[28:29], exec
	s_andn2_saveexec_b64 vcc, s[30:31]
	s_cbranch_execz .LBB3_342
.LBB3_361:                              ;   in Loop: Header=BB3_336 Depth=2
	v_mov_b32_e32 v12, s19
	ds_read_b32 v34, v12 offset:260
	s_or_b64 s[28:29], s[28:29], exec
                                        ; implicit-def: $vgpr45
                                        ; implicit-def: $vgpr12
	s_or_b64 exec, exec, vcc
	s_and_saveexec_b64 vcc, s[28:29]
	s_cbranch_execnz .LBB3_343
	s_branch .LBB3_344
.LBB3_362:                              ;   in Loop: Header=BB3_336 Depth=2
	v_cmp_eq_f32_e32 vcc, v23, v45
                                        ; implicit-def: $vgpr34
	s_and_saveexec_b64 s[34:35], vcc
	s_cbranch_execz .LBB3_364
; %bb.363:                              ;   in Loop: Header=BB3_336 Depth=2
	v_mov_b32_e32 v34, s19
	ds_read_b32 v34, v34 offset:264
	s_waitcnt lgkmcnt(0)
	v_cmp_lt_i32_e32 vcc, v34, v12
	s_and_b64 s[28:29], vcc, exec
.LBB3_364:                              ;   in Loop: Header=BB3_336 Depth=2
	s_or_b64 exec, exec, s[34:35]
	s_and_b64 s[28:29], s[28:29], exec
	s_andn2_saveexec_b64 vcc, s[30:31]
	s_cbranch_execz .LBB3_346
.LBB3_365:                              ;   in Loop: Header=BB3_336 Depth=2
	v_mov_b32_e32 v12, s19
	ds_read_b32 v34, v12 offset:264
	s_or_b64 s[28:29], s[28:29], exec
                                        ; implicit-def: $vgpr45
                                        ; implicit-def: $vgpr12
	s_or_b64 exec, exec, vcc
	s_and_saveexec_b64 vcc, s[28:29]
	s_cbranch_execnz .LBB3_347
	s_branch .LBB3_348
.LBB3_366:                              ;   in Loop: Header=BB3_336 Depth=2
	v_cmp_eq_f32_e32 vcc, v23, v45
                                        ; implicit-def: $vgpr34
	s_and_saveexec_b64 s[34:35], vcc
	s_cbranch_execz .LBB3_368
; %bb.367:                              ;   in Loop: Header=BB3_336 Depth=2
	v_mov_b32_e32 v34, s19
	ds_read_b32 v34, v34 offset:268
	s_waitcnt lgkmcnt(0)
	v_cmp_lt_i32_e32 vcc, v34, v12
	s_and_b64 s[28:29], vcc, exec
.LBB3_368:                              ;   in Loop: Header=BB3_336 Depth=2
	s_or_b64 exec, exec, s[34:35]
	s_and_b64 s[28:29], s[28:29], exec
	s_andn2_saveexec_b64 vcc, s[30:31]
	s_cbranch_execz .LBB3_350
.LBB3_369:                              ;   in Loop: Header=BB3_336 Depth=2
	v_mov_b32_e32 v12, s19
	ds_read_b32 v34, v12 offset:268
	s_or_b64 s[28:29], s[28:29], exec
                                        ; implicit-def: $vgpr45
                                        ; implicit-def: $vgpr12
	s_or_b64 exec, exec, vcc
	s_and_saveexec_b64 vcc, s[28:29]
	s_cbranch_execnz .LBB3_351
	s_branch .LBB3_352
.LBB3_370:                              ;   in Loop: Header=BB3_70 Depth=1
	s_add_i32 s19, s36, 5
.LBB3_371:                              ;   in Loop: Header=BB3_70 Depth=1
	s_andn2_b64 vcc, exec, s[26:27]
	s_cbranch_vccnz .LBB3_382
; %bb.372:                              ;   in Loop: Header=BB3_70 Depth=1
	s_lshl_b32 s19, s19, 2
	s_mov_b32 s36, s15
	s_branch .LBB3_374
.LBB3_373:                              ;   in Loop: Header=BB3_374 Depth=2
	s_or_b64 exec, exec, vcc
	s_add_i32 s19, s19, 4
	s_add_i32 s36, s36, -1
	s_cmp_lg_u32 s36, 0
	s_cbranch_scc0 .LBB3_382
.LBB3_374:                              ;   Parent Loop BB3_70 Depth=1
                                        ; =>  This Inner Loop Header: Depth=2
	v_mov_b32_e32 v23, s19
	ds_read_b32 v23, v23
	s_mov_b64 s[28:29], 0
                                        ; implicit-def: $vgpr34
	s_waitcnt lgkmcnt(0)
	v_cmp_nlt_f32_e32 vcc, v23, v45
	s_and_saveexec_b64 s[30:31], vcc
	s_xor_b64 s[30:31], exec, s[30:31]
	s_cbranch_execnz .LBB3_377
; %bb.375:                              ;   in Loop: Header=BB3_374 Depth=2
	s_andn2_saveexec_b64 vcc, s[30:31]
	s_cbranch_execnz .LBB3_380
.LBB3_376:                              ;   in Loop: Header=BB3_374 Depth=2
	s_or_b64 exec, exec, vcc
	s_and_saveexec_b64 vcc, s[28:29]
	s_cbranch_execz .LBB3_373
	s_branch .LBB3_381
.LBB3_377:                              ;   in Loop: Header=BB3_374 Depth=2
	v_cmp_eq_f32_e32 vcc, v23, v45
                                        ; implicit-def: $vgpr34
	s_and_saveexec_b64 s[34:35], vcc
	s_cbranch_execz .LBB3_379
; %bb.378:                              ;   in Loop: Header=BB3_374 Depth=2
	v_mov_b32_e32 v34, s19
	ds_read_b32 v34, v34 offset:256
	s_waitcnt lgkmcnt(0)
	v_cmp_lt_i32_e32 vcc, v34, v12
	s_and_b64 s[28:29], vcc, exec
.LBB3_379:                              ;   in Loop: Header=BB3_374 Depth=2
	s_or_b64 exec, exec, s[34:35]
	s_and_b64 s[28:29], s[28:29], exec
	s_andn2_saveexec_b64 vcc, s[30:31]
	s_cbranch_execz .LBB3_376
.LBB3_380:                              ;   in Loop: Header=BB3_374 Depth=2
	v_mov_b32_e32 v12, s19
	ds_read_b32 v34, v12 offset:256
	s_or_b64 s[28:29], s[28:29], exec
                                        ; implicit-def: $vgpr45
                                        ; implicit-def: $vgpr12
	s_or_b64 exec, exec, vcc
	s_and_saveexec_b64 vcc, s[28:29]
	s_cbranch_execz .LBB3_373
.LBB3_381:                              ;   in Loop: Header=BB3_374 Depth=2
	s_waitcnt lgkmcnt(0)
	v_mov_b32_e32 v12, v34
	v_mov_b32_e32 v45, v23
	ds_write_b32 v49, v34 offset:256
	s_branch .LBB3_373
.LBB3_382:                              ;   in Loop: Header=BB3_70 Depth=1
	v_cmp_gt_f32_e32 vcc, v45, v16
	s_and_b64 exec, exec, vcc
	s_cbranch_execz .LBB3_384
; %bb.383:                              ;   in Loop: Header=BB3_70 Depth=1
	s_waitcnt lgkmcnt(0)
	v_mov_b32_e32 v12, -1
	ds_write_b32 v49, v12 offset:256
.LBB3_384:                              ;   in Loop: Header=BB3_70 Depth=1
	s_or_b64 exec, exec, s[12:13]
	s_waitcnt lgkmcnt(0)
	s_barrier
	ds_read_b32 v23, v49 offset:256
	s_waitcnt lgkmcnt(0)
	v_readfirstlane_b32 s12, v23
	v_cmp_gt_i32_e32 vcc, 0, v23
	s_cmp_gt_i32 s12, -1
	s_cselect_b64 s[12:13], -1, 0
	s_cbranch_vccnz .LBB3_388
; %bb.385:                              ;   in Loop: Header=BB3_70 Depth=1
	s_and_saveexec_b64 s[28:29], s[4:5]
	s_cbranch_execz .LBB3_68
; %bb.386:                              ;   in Loop: Header=BB3_70 Depth=1
	v_add_co_u32_e32 v34, vcc, v1, v23
	v_addc_co_u32_e32 v35, vcc, 0, v2, vcc
	flat_store_byte v[34:35], v41
	s_and_b64 exec, exec, s[10:11]
	s_cbranch_execz .LBB3_68
; %bb.387:                              ;   in Loop: Header=BB3_70 Depth=1
	s_ashr_i32 s19, s18, 31
	s_lshl_b64 vcc, s[18:19], 2
	v_mov_b32_e32 v12, vcc_hi
	v_add_co_u32_e32 v34, vcc, vcc_lo, v14
	v_addc_co_u32_e32 v35, vcc, v15, v12, vcc
	flat_store_dword v[34:35], v23
	s_branch .LBB3_68
.LBB3_388:                              ;   in Loop: Header=BB3_70 Depth=1
	v_mov_b32_e32 v23, v43
	s_branch .LBB3_69
.LBB3_389:
	s_or_b64 exec, exec, s[20:21]
.LBB3_390:
	s_or_b64 exec, exec, s[16:17]
	s_barrier
	buffer_load_dword v61, off, s[0:3], s32 ; 4-byte Folded Reload
	v_readlane_b32 s30, v63, 33
	v_mov_b32_e32 v0, v12
	v_readlane_b32 s31, v63, 34
	v_readlane_b32 s66, v63, 32
	v_readlane_b32 s65, v63, 31
	v_readlane_b32 s64, v63, 30
	v_readlane_b32 s63, v63, 29
	v_readlane_b32 s62, v63, 28
	v_readlane_b32 s61, v63, 27
	v_readlane_b32 s60, v63, 26
	v_readlane_b32 s59, v63, 25
	v_readlane_b32 s58, v63, 24
	v_readlane_b32 s57, v63, 23
	v_readlane_b32 s56, v63, 22
	v_readlane_b32 s55, v63, 21
	v_readlane_b32 s54, v63, 20
	v_readlane_b32 s53, v63, 19
	v_readlane_b32 s52, v63, 18
	v_readlane_b32 s51, v63, 17
	v_readlane_b32 s50, v63, 16
	v_readlane_b32 s49, v63, 15
	v_readlane_b32 s48, v63, 14
	v_readlane_b32 s47, v63, 13
	v_readlane_b32 s46, v63, 12
	v_readlane_b32 s45, v63, 11
	v_readlane_b32 s44, v63, 10
	v_readlane_b32 s43, v63, 9
	v_readlane_b32 s42, v63, 8
	v_readlane_b32 s41, v63, 7
	v_readlane_b32 s40, v63, 6
	v_readlane_b32 s39, v63, 5
	v_readlane_b32 s38, v63, 4
	v_readlane_b32 s37, v63, 3
	v_readlane_b32 s36, v63, 2
	v_readlane_b32 s35, v63, 1
	v_readlane_b32 s34, v63, 0
	v_accvgpr_read_b32 v60, a31             ;  Reload Reuse
	v_accvgpr_read_b32 v59, a30             ;  Reload Reuse
	;; [unrolled: 1-line block ×12, first 2 shown]
	v_accvgpr_read_b32 v40, a5              ;  Reload Reuse
	s_or_saveexec_b64 s[4:5], -1
	buffer_load_dword v63, off, s[0:3], s32 offset:4 ; 4-byte Folded Reload
	buffer_load_dword v62, off, s[0:3], s32 offset:8 ; 4-byte Folded Reload
	s_mov_b64 exec, s[4:5]
	s_waitcnt vmcnt(0)
	s_setpc_b64 s[30:31]
.Lfunc_end3:
	.size	_Z42generate_candidate_cluster_compact_storageiiPcPfS_PiS0_iiiS1_f, .Lfunc_end3-_Z42generate_candidate_cluster_compact_storageiiPcPfS_PiS0_iiiS1_f
                                        ; -- End function
	.section	.AMDGPU.csdata,"",@progbits
; Function info:
; codeLenInByte = 11312
; NumSgprs: 71
; NumVgprs: 64
; NumAgprs: 32
; TotalNumVgprs: 96
; ScratchSize: 16
; MemoryBound: 0
	.text
	.protected	_Z30trim_ungrouped_pnts_indr_arrayiPiPfS_PcS1_S_S_S0_S_iiif ; -- Begin function _Z30trim_ungrouped_pnts_indr_arrayiPiPfS_PcS1_S_S_S0_S_iiif
	.globl	_Z30trim_ungrouped_pnts_indr_arrayiPiPfS_PcS1_S_S_S0_S_iiif
	.p2align	8
	.type	_Z30trim_ungrouped_pnts_indr_arrayiPiPfS_PcS1_S_S_S0_S_iiif,@function
_Z30trim_ungrouped_pnts_indr_arrayiPiPfS_PcS1_S_S_S0_S_iiif: ; @_Z30trim_ungrouped_pnts_indr_arrayiPiPfS_PcS1_S_S_S0_S_iiif
; %bb.0:
	s_add_u32 flat_scratch_lo, s6, s11
	s_addc_u32 flat_scratch_hi, s7, 0
	s_add_u32 s0, s0, s11
	s_load_dword s11, s[4:5], 0x0
	s_load_dwordx8 s[68:75], s[4:5], 0x8
	s_load_dwordx4 s[16:19], s[4:5], 0x28
	s_load_dwordx2 s[6:7], s[4:5], 0x40
	s_load_dwordx4 s[76:79], s[4:5], 0x50
	s_load_dwordx2 s[80:81], s[4:5], 0x6c
	s_addc_u32 s1, s1, 0
	s_mov_b32 s12, s8
	s_add_u32 s8, s4, 0x60
	s_mov_b32 s13, s9
	v_mov_b32_e32 v40, v0
	s_addc_u32 s9, s5, 0
	s_mov_b32 s14, s10
	v_mov_b32_e32 v31, v0
	s_waitcnt lgkmcnt(0)
	v_mov_b32_e32 v0, s11
	v_mov_b32_e32 v1, s74
	;; [unrolled: 1-line block ×17, first 2 shown]
	s_mov_b32 s32, 0
	s_getpc_b64 s[4:5]
	s_add_u32 s4, s4, _Z42generate_candidate_cluster_compact_storageiiPcPfS_PiS0_iiiS1_f@rel32@lo+4
	s_addc_u32 s5, s5, _Z42generate_candidate_cluster_compact_storageiiPcPfS_PiS0_iiiS1_f@rel32@hi+12
	s_swappc_b64 s[30:31], s[4:5]
	v_cmp_eq_u32_e64 s[4:5], 0, v40
	s_and_saveexec_b64 s[6:7], s[4:5]
	s_cbranch_execz .LBB4_2
; %bb.1:
	v_mov_b32_e32 v0, 0
	ds_write_b32 v0, v0 offset:768
	ds_write_b8 v0, v0 offset:772
.LBB4_2:
	s_or_b64 exec, exec, s[6:7]
	v_cmp_gt_i32_e32 vcc, s76, v40
	s_waitcnt lgkmcnt(0)
	s_barrier
	s_and_saveexec_b64 s[6:7], vcc
	s_cbranch_execz .LBB4_20
; %bb.3:
	s_and_b32 s81, s81, 0xffff
	s_lshr_b32 s6, s80, 16
	s_and_b32 s7, s80, 0xffff
	s_mul_i32 s16, s6, s7
	s_and_b32 s6, s81, 0xffff
	s_mul_i32 s16, s16, s6
	s_cmp_gt_i32 s16, 0
	v_mov_b32_e32 v0, 0x200
	s_cselect_b64 s[8:9], -1, 0
	v_lshl_add_u32 v0, v40, 2, v0
	s_mov_b32 s17, 0
	s_mov_b64 s[6:7], 0
	v_mov_b32_e32 v1, s69
	v_mov_b32_e32 v2, s75
	;; [unrolled: 1-line block ×3, first 2 shown]
	v_not_b32_e32 v4, 41
	s_xor_b64 s[8:9], s[8:9], -1
	s_movk_i32 s18, 0xffd6
	v_mov_b32_e32 v5, 1
	s_branch .LBB4_7
.LBB4_4:                                ;   in Loop: Header=BB4_7 Depth=1
	s_mov_b32 s13, s12
.LBB4_5:                                ;   in Loop: Header=BB4_7 Depth=1
	v_mov_b32_e32 v6, s13
	ds_write_b32 v3, v6 offset:768
	ds_write_b8 v3, v3 offset:772
.LBB4_6:                                ;   in Loop: Header=BB4_7 Depth=1
	s_or_b64 exec, exec, s[10:11]
	s_add_i32 s17, s17, s16
	v_add_u32_e32 v6, s17, v40
	v_cmp_le_i32_e32 vcc, s76, v6
	s_or_b64 s[6:7], vcc, s[6:7]
	s_waitcnt lgkmcnt(0)
	s_barrier
	s_andn2_b64 exec, exec, s[6:7]
	s_cbranch_execz .LBB4_20
.LBB4_7:                                ; =>This Loop Header: Depth=1
                                        ;     Child Loop BB4_18 Depth 2
	v_add_u32_e32 v6, s17, v40
	v_ashrrev_i32_e32 v7, 31, v6
	v_lshlrev_b64 v[6:7], 2, v[6:7]
	v_add_co_u32_e32 v6, vcc, s68, v6
	v_addc_co_u32_e32 v7, vcc, v1, v7, vcc
	global_load_dword v6, v[6:7], off
	s_waitcnt vmcnt(0)
	v_ashrrev_i32_e32 v7, 31, v6
	v_add_co_u32_e32 v8, vcc, s74, v6
	v_addc_co_u32_e32 v9, vcc, v2, v7, vcc
	global_load_ubyte v7, v[8:9], off
	ds_write_b32 v0, v6
	s_waitcnt vmcnt(0)
	v_cmp_ne_u16_e32 vcc, 1, v7
	s_and_saveexec_b64 s[10:11], vcc
	s_xor_b64 s[10:11], exec, s[10:11]
	s_cbranch_execz .LBB4_9
; %bb.8:                                ;   in Loop: Header=BB4_7 Depth=1
	ds_read_b32 v7, v3 offset:768
	s_waitcnt lgkmcnt(0)
	v_add_u32_e32 v8, v7, v40
	v_ashrrev_i32_e32 v9, 31, v8
	v_lshlrev_b64 v[8:9], 2, v[8:9]
	v_add_co_u32_e32 v8, vcc, s68, v8
	v_addc_co_u32_e32 v9, vcc, v1, v9, vcc
	global_store_dword v[8:9], v6, off
.LBB4_9:                                ;   in Loop: Header=BB4_7 Depth=1
	s_andn2_saveexec_b64 s[10:11], s[10:11]
	s_cbranch_execz .LBB4_11
; %bb.10:                               ;   in Loop: Header=BB4_7 Depth=1
	ds_write_b8 v3, v5 offset:772
	ds_write_b32 v0, v4
.LBB4_11:                               ;   in Loop: Header=BB4_7 Depth=1
	s_or_b64 exec, exec, s[10:11]
	s_waitcnt lgkmcnt(0)
	s_barrier
	s_and_saveexec_b64 s[10:11], s[4:5]
	s_cbranch_execz .LBB4_6
; %bb.12:                               ;   in Loop: Header=BB4_7 Depth=1
	ds_read_u8 v6, v3 offset:772
	ds_read_b32 v7, v3 offset:768
	s_mov_b64 s[14:15], -1
                                        ; implicit-def: $sgpr13
	s_waitcnt lgkmcnt(1)
	v_cmp_eq_u32_e32 vcc, 0, v6
	s_waitcnt lgkmcnt(0)
	v_readfirstlane_b32 s12, v7
	s_cbranch_vccz .LBB4_14
; %bb.13:                               ;   in Loop: Header=BB4_7 Depth=1
	s_add_i32 s13, s12, s16
	s_mov_b64 s[14:15], 0
.LBB4_14:                               ;   in Loop: Header=BB4_7 Depth=1
	s_andn2_b64 vcc, exec, s[14:15]
	s_cbranch_vccnz .LBB4_5
; %bb.15:                               ;   in Loop: Header=BB4_7 Depth=1
	s_cmp_ge_i32 s17, s76
	s_cselect_b64 s[14:15], -1, 0
	s_or_b64 s[14:15], s[8:9], s[14:15]
	s_and_b64 vcc, exec, s[14:15]
	s_cbranch_vccnz .LBB4_4
; %bb.16:                               ;   in Loop: Header=BB4_7 Depth=1
	s_mov_b32 s14, 1
	s_movk_i32 s15, 0x200
	s_branch .LBB4_18
.LBB4_17:                               ;   in Loop: Header=BB4_18 Depth=2
	s_cmp_lt_i32 s14, s16
	s_cselect_b64 s[20:21], -1, 0
	s_add_i32 s13, s17, s14
	s_cmp_lt_i32 s13, s76
	s_cselect_b64 s[22:23], -1, 0
	s_and_b64 s[20:21], s[20:21], s[22:23]
	s_add_i32 s14, s14, 1
	s_andn2_b64 vcc, exec, s[20:21]
	s_add_i32 s15, s15, 4
	s_cbranch_vccnz .LBB4_4
.LBB4_18:                               ;   Parent Loop BB4_7 Depth=1
                                        ; =>  This Inner Loop Header: Depth=2
	v_mov_b32_e32 v6, s15
	ds_read_b32 v6, v6
	s_waitcnt lgkmcnt(0)
	v_cmp_eq_u32_e32 vcc, s18, v6
	s_cbranch_vccnz .LBB4_17
; %bb.19:                               ;   in Loop: Header=BB4_18 Depth=2
	s_ashr_i32 s13, s12, 31
	s_add_i32 s19, s12, 1
	s_lshl_b64 s[12:13], s[12:13], 2
	s_add_u32 s12, s68, s12
	s_addc_u32 s13, s69, s13
	global_store_dword v3, v6, s[12:13]
	s_mov_b32 s12, s19
	s_branch .LBB4_17
.LBB4_20:
	s_endpgm
	.section	.rodata,"a",@progbits
	.p2align	6, 0x0
	.amdhsa_kernel _Z30trim_ungrouped_pnts_indr_arrayiPiPfS_PcS1_S_S_S0_S_iiif
		.amdhsa_group_segment_fixed_size 776
		.amdhsa_private_segment_fixed_size 16
		.amdhsa_kernarg_size 352
		.amdhsa_user_sgpr_count 8
		.amdhsa_user_sgpr_private_segment_buffer 1
		.amdhsa_user_sgpr_dispatch_ptr 0
		.amdhsa_user_sgpr_queue_ptr 0
		.amdhsa_user_sgpr_kernarg_segment_ptr 1
		.amdhsa_user_sgpr_dispatch_id 0
		.amdhsa_user_sgpr_flat_scratch_init 1
		.amdhsa_user_sgpr_kernarg_preload_length 0
		.amdhsa_user_sgpr_kernarg_preload_offset 0
		.amdhsa_user_sgpr_private_segment_size 0
		.amdhsa_uses_dynamic_stack 0
		.amdhsa_system_sgpr_private_segment_wavefront_offset 1
		.amdhsa_system_sgpr_workgroup_id_x 1
		.amdhsa_system_sgpr_workgroup_id_y 1
		.amdhsa_system_sgpr_workgroup_id_z 1
		.amdhsa_system_sgpr_workgroup_info 0
		.amdhsa_system_vgpr_workitem_id 0
		.amdhsa_next_free_vgpr 96
		.amdhsa_next_free_sgpr 82
		.amdhsa_accum_offset 64
		.amdhsa_reserve_vcc 1
		.amdhsa_reserve_flat_scratch 1
		.amdhsa_float_round_mode_32 0
		.amdhsa_float_round_mode_16_64 0
		.amdhsa_float_denorm_mode_32 3
		.amdhsa_float_denorm_mode_16_64 3
		.amdhsa_dx10_clamp 1
		.amdhsa_ieee_mode 1
		.amdhsa_fp16_overflow 0
		.amdhsa_tg_split 0
		.amdhsa_exception_fp_ieee_invalid_op 0
		.amdhsa_exception_fp_denorm_src 0
		.amdhsa_exception_fp_ieee_div_zero 0
		.amdhsa_exception_fp_ieee_overflow 0
		.amdhsa_exception_fp_ieee_underflow 0
		.amdhsa_exception_fp_ieee_inexact 0
		.amdhsa_exception_int_div_zero 0
	.end_amdhsa_kernel
	.text
.Lfunc_end4:
	.size	_Z30trim_ungrouped_pnts_indr_arrayiPiPfS_PcS1_S_S_S0_S_iiif, .Lfunc_end4-_Z30trim_ungrouped_pnts_indr_arrayiPiPfS_PcS1_S_S_S0_S_iiif
                                        ; -- End function
	.section	.AMDGPU.csdata,"",@progbits
; Kernel info:
; codeLenInByte = 780
; NumSgprs: 88
; NumVgprs: 64
; NumAgprs: 32
; TotalNumVgprs: 96
; ScratchSize: 16
; MemoryBound: 0
; FloatMode: 240
; IeeeMode: 1
; LDSByteSize: 776 bytes/workgroup (compile time only)
; SGPRBlocks: 10
; VGPRBlocks: 11
; NumSGPRsForWavesPerEU: 88
; NumVGPRsForWavesPerEU: 96
; AccumOffset: 64
; Occupancy: 5
; WaveLimiterHint : 1
; COMPUTE_PGM_RSRC2:SCRATCH_EN: 1
; COMPUTE_PGM_RSRC2:USER_SGPR: 8
; COMPUTE_PGM_RSRC2:TRAP_HANDLER: 0
; COMPUTE_PGM_RSRC2:TGID_X_EN: 1
; COMPUTE_PGM_RSRC2:TGID_Y_EN: 1
; COMPUTE_PGM_RSRC2:TGID_Z_EN: 1
; COMPUTE_PGM_RSRC2:TIDIG_COMP_CNT: 0
; COMPUTE_PGM_RSRC3_GFX90A:ACCUM_OFFSET: 15
; COMPUTE_PGM_RSRC3_GFX90A:TG_SPLIT: 0
	.text
	.protected	_Z10QTC_devicePfPcS0_PiS1_S1_S_S1_iiifiii ; -- Begin function _Z10QTC_devicePfPcS0_PiS1_S1_S_S1_iiifiii
	.globl	_Z10QTC_devicePfPcS0_PiS1_S1_S_S1_iiifiii
	.p2align	8
	.type	_Z10QTC_devicePfPcS0_PiS1_S1_S_S1_iiifiii,@function
_Z10QTC_devicePfPcS0_PiS1_S1_S_S1_iiifiii: ; @_Z10QTC_devicePfPcS0_PiS1_S1_S_S1_iiifiii
; %bb.0:
	s_load_dwordx8 s[88:95], s[4:5], 0x40
	s_load_dwordx16 s[72:87], s[4:5], 0x0
	s_add_u32 flat_scratch_lo, s6, s11
	s_addc_u32 flat_scratch_hi, s7, 0
	s_add_u32 s0, s0, s11
	s_mov_b64 s[68:69], s[4:5]
	s_waitcnt lgkmcnt(0)
	s_mul_i32 s4, s8, s93
	s_addc_u32 s1, s1, 0
	s_add_i32 s71, s4, s92
	s_mov_b32 s33, s8
	v_mov_b32_e32 v42, v0
	s_cmp_ge_i32 s71, s88
	s_mov_b32 s32, 0
	s_cbranch_scc1 .LBB5_5
; %bb.1:
	s_mul_i32 s5, s33, s89
	s_ashr_i32 s6, s5, 31
	s_add_u32 s93, s74, s5
	s_addc_u32 s96, s75, s6
	s_mul_i32 s6, s33, s90
	s_ashr_i32 s7, s6, 31
	s_lshl_b64 s[6:7], s[6:7], 2
	s_add_u32 s97, s84, s6
	s_addc_u32 s98, s85, s7
	s_ashr_i32 s5, s92, 31
	s_ashr_i32 s6, s4, 31
	s_add_u32 s4, s92, s4
	s_addc_u32 s5, s5, s6
	s_lshl_b64 s[4:5], s[4:5], 2
	s_add_u32 s74, s82, s4
	s_addc_u32 s75, s83, s5
	s_ashr_i32 s95, s94, 31
	s_mov_b32 s67, s10
	s_mov_b32 s70, s9
	s_lshl_b64 s[82:83], s[94:95], 2
	v_mov_b32_e32 v44, -1
	v_mov_b32_e32 v43, 0
	v_mov_b32_e32 v46, s87
	s_branch .LBB5_3
.LBB5_2:                                ;   in Loop: Header=BB5_3 Depth=1
	s_or_b64 exec, exec, s[84:85]
	s_add_i32 s71, s71, s94
	s_add_u32 s74, s74, s82
	s_addc_u32 s75, s75, s83
	s_cmp_lt_i32 s71, s88
	s_cbranch_scc0 .LBB5_6
.LBB5_3:                                ; =>This Inner Loop Header: Depth=1
	global_load_dword v40, v43, s[74:75]
	s_waitcnt vmcnt(0)
	v_ashrrev_i32_e32 v41, 31, v40
	v_lshlrev_b64 v[0:1], 2, v[40:41]
	v_add_co_u32_e32 v0, vcc, s86, v0
	v_addc_co_u32_e32 v1, vcc, v46, v1, vcc
	global_load_dword v0, v[0:1], off
	s_waitcnt vmcnt(0)
	v_cmp_gt_i32_e32 vcc, v0, v44
	s_and_saveexec_b64 s[84:85], vcc
	s_cbranch_execz .LBB5_2
; %bb.4:                                ;   in Loop: Header=BB5_3 Depth=1
	s_add_u32 s8, s68, 0x60
	s_addc_u32 s9, s69, 0
	s_mov_b32 s12, s33
	s_mov_b32 s13, s70
	;; [unrolled: 1-line block ×3, first 2 shown]
	v_mov_b32_e32 v31, v42
	v_mov_b32_e32 v0, v40
	v_mov_b32_e32 v1, s93
	v_mov_b32_e32 v2, s96
	v_mov_b32_e32 v3, s72
	v_mov_b32_e32 v4, s73
	v_mov_b32_e32 v5, s76
	v_mov_b32_e32 v6, s77
	v_mov_b32_e32 v7, s78
	v_mov_b32_e32 v8, s79
	v_mov_b32_e32 v9, s97
	v_mov_b32_e32 v10, s98
	v_mov_b32_e32 v11, s88
	v_mov_b32_e32 v12, s89
	v_mov_b32_e32 v13, s90
	v_mov_b32_e32 v14, 0
	v_mov_b32_e32 v15, 0
	v_mov_b32_e32 v16, s91
	s_getpc_b64 s[4:5]
	s_add_u32 s4, s4, _Z42generate_candidate_cluster_compact_storageiiPcPfS_PiS0_iiiS1_f@rel32@lo+4
	s_addc_u32 s5, s5, _Z42generate_candidate_cluster_compact_storageiiPcPfS_PiS0_iiiS1_f@rel32@hi+12
	s_swappc_b64 s[30:31], s[4:5]
	v_cmp_gt_i32_e32 vcc, v0, v44
	v_cndmask_b32_e32 v45, v45, v40, vcc
	v_max_i32_e32 v44, v0, v44
	s_branch .LBB5_2
.LBB5_5:
	v_mov_b32_e32 v44, -1
.LBB5_6:
	v_cmp_eq_u32_e32 vcc, 0, v42
	s_and_saveexec_b64 s[4:5], vcc
	s_cbranch_execz .LBB5_8
; %bb.7:
	s_lshl_b32 s4, s33, 1
	s_ashr_i32 s5, s4, 31
	s_lshl_b64 s[4:5], s[4:5], 2
	s_add_u32 s4, s80, s4
	s_addc_u32 s5, s81, s5
	v_mov_b32_e32 v0, 0
	global_store_dwordx2 v0, v[44:45], s[4:5]
.LBB5_8:
	s_endpgm
	.section	.rodata,"a",@progbits
	.p2align	6, 0x0
	.amdhsa_kernel _Z10QTC_devicePfPcS0_PiS1_S1_S_S1_iiifiii
		.amdhsa_group_segment_fixed_size 512
		.amdhsa_private_segment_fixed_size 16
		.amdhsa_kernarg_size 352
		.amdhsa_user_sgpr_count 8
		.amdhsa_user_sgpr_private_segment_buffer 1
		.amdhsa_user_sgpr_dispatch_ptr 0
		.amdhsa_user_sgpr_queue_ptr 0
		.amdhsa_user_sgpr_kernarg_segment_ptr 1
		.amdhsa_user_sgpr_dispatch_id 0
		.amdhsa_user_sgpr_flat_scratch_init 1
		.amdhsa_user_sgpr_kernarg_preload_length 0
		.amdhsa_user_sgpr_kernarg_preload_offset 0
		.amdhsa_user_sgpr_private_segment_size 0
		.amdhsa_uses_dynamic_stack 0
		.amdhsa_system_sgpr_private_segment_wavefront_offset 1
		.amdhsa_system_sgpr_workgroup_id_x 1
		.amdhsa_system_sgpr_workgroup_id_y 1
		.amdhsa_system_sgpr_workgroup_id_z 1
		.amdhsa_system_sgpr_workgroup_info 0
		.amdhsa_system_vgpr_workitem_id 0
		.amdhsa_next_free_vgpr 96
		.amdhsa_next_free_sgpr 99
		.amdhsa_accum_offset 64
		.amdhsa_reserve_vcc 1
		.amdhsa_reserve_flat_scratch 1
		.amdhsa_float_round_mode_32 0
		.amdhsa_float_round_mode_16_64 0
		.amdhsa_float_denorm_mode_32 3
		.amdhsa_float_denorm_mode_16_64 3
		.amdhsa_dx10_clamp 1
		.amdhsa_ieee_mode 1
		.amdhsa_fp16_overflow 0
		.amdhsa_tg_split 0
		.amdhsa_exception_fp_ieee_invalid_op 0
		.amdhsa_exception_fp_denorm_src 0
		.amdhsa_exception_fp_ieee_div_zero 0
		.amdhsa_exception_fp_ieee_overflow 0
		.amdhsa_exception_fp_ieee_underflow 0
		.amdhsa_exception_fp_ieee_inexact 0
		.amdhsa_exception_int_div_zero 0
	.end_amdhsa_kernel
	.text
.Lfunc_end5:
	.size	_Z10QTC_devicePfPcS0_PiS1_S1_S_S1_iiifiii, .Lfunc_end5-_Z10QTC_devicePfPcS0_PiS1_S1_S_S1_iiifiii
                                        ; -- End function
	.section	.AMDGPU.csdata,"",@progbits
; Kernel info:
; codeLenInByte = 432
; NumSgprs: 105
; NumVgprs: 64
; NumAgprs: 32
; TotalNumVgprs: 96
; ScratchSize: 16
; MemoryBound: 0
; FloatMode: 240
; IeeeMode: 1
; LDSByteSize: 512 bytes/workgroup (compile time only)
; SGPRBlocks: 13
; VGPRBlocks: 11
; NumSGPRsForWavesPerEU: 105
; NumVGPRsForWavesPerEU: 96
; AccumOffset: 64
; Occupancy: 5
; WaveLimiterHint : 1
; COMPUTE_PGM_RSRC2:SCRATCH_EN: 1
; COMPUTE_PGM_RSRC2:USER_SGPR: 8
; COMPUTE_PGM_RSRC2:TRAP_HANDLER: 0
; COMPUTE_PGM_RSRC2:TGID_X_EN: 1
; COMPUTE_PGM_RSRC2:TGID_Y_EN: 1
; COMPUTE_PGM_RSRC2:TGID_Z_EN: 1
; COMPUTE_PGM_RSRC2:TIDIG_COMP_CNT: 0
; COMPUTE_PGM_RSRC3_GFX90A:ACCUM_OFFSET: 15
; COMPUTE_PGM_RSRC3_GFX90A:TG_SPLIT: 0
	.text
	.p2alignl 6, 3212836864
	.fill 256, 4, 3212836864
	.type	__hip_cuid_fc5aaceaec64da4c,@object ; @__hip_cuid_fc5aaceaec64da4c
	.section	.bss,"aw",@nobits
	.globl	__hip_cuid_fc5aaceaec64da4c
__hip_cuid_fc5aaceaec64da4c:
	.byte	0                               ; 0x0
	.size	__hip_cuid_fc5aaceaec64da4c, 1

	.ident	"AMD clang version 19.0.0git (https://github.com/RadeonOpenCompute/llvm-project roc-6.4.0 25133 c7fe45cf4b819c5991fe208aaa96edf142730f1d)"
	.section	".note.GNU-stack","",@progbits
	.addrsig
	.addrsig_sym __hip_cuid_fc5aaceaec64da4c
	.amdgpu_metadata
---
amdhsa.kernels:
  - .agpr_count:     0
    .args:
      - .address_space:  global
        .offset:         0
        .size:           8
        .value_kind:     global_buffer
      - .offset:         8
        .size:           4
        .value_kind:     by_value
    .group_segment_fixed_size: 0
    .kernarg_segment_align: 8
    .kernarg_segment_size: 12
    .language:       OpenCL C
    .language_version:
      - 2
      - 0
    .max_flat_workgroup_size: 1024
    .name:           _Z18reduce_card_devicePii
    .private_segment_fixed_size: 0
    .sgpr_count:     14
    .sgpr_spill_count: 0
    .symbol:         _Z18reduce_card_devicePii.kd
    .uniform_work_group_size: 1
    .uses_dynamic_stack: false
    .vgpr_count:     3
    .vgpr_spill_count: 0
    .wavefront_size: 64
  - .agpr_count:     0
    .args:
      - .address_space:  global
        .offset:         0
        .size:           8
        .value_kind:     global_buffer
      - .address_space:  global
        .offset:         8
        .size:           8
        .value_kind:     global_buffer
      - .offset:         16
        .size:           4
        .value_kind:     by_value
      - .offset:         20
        .size:           4
        .value_kind:     by_value
      - .offset:         24
        .size:           4
        .value_kind:     hidden_block_count_x
      - .offset:         28
        .size:           4
        .value_kind:     hidden_block_count_y
      - .offset:         32
        .size:           4
        .value_kind:     hidden_block_count_z
      - .offset:         36
        .size:           2
        .value_kind:     hidden_group_size_x
      - .offset:         38
        .size:           2
        .value_kind:     hidden_group_size_y
      - .offset:         40
        .size:           2
        .value_kind:     hidden_group_size_z
      - .offset:         42
        .size:           2
        .value_kind:     hidden_remainder_x
      - .offset:         44
        .size:           2
        .value_kind:     hidden_remainder_y
      - .offset:         46
        .size:           2
        .value_kind:     hidden_remainder_z
      - .offset:         64
        .size:           8
        .value_kind:     hidden_global_offset_x
      - .offset:         72
        .size:           8
        .value_kind:     hidden_global_offset_y
      - .offset:         80
        .size:           8
        .value_kind:     hidden_global_offset_z
      - .offset:         88
        .size:           2
        .value_kind:     hidden_grid_dims
    .group_segment_fixed_size: 0
    .kernarg_segment_align: 8
    .kernarg_segment_size: 280
    .language:       OpenCL C
    .language_version:
      - 2
      - 0
    .max_flat_workgroup_size: 1024
    .name:           _Z15compute_degreesPiS_ii
    .private_segment_fixed_size: 0
    .sgpr_count:     26
    .sgpr_spill_count: 0
    .symbol:         _Z15compute_degreesPiS_ii.kd
    .uniform_work_group_size: 1
    .uses_dynamic_stack: false
    .vgpr_count:     10
    .vgpr_spill_count: 0
    .wavefront_size: 64
  - .agpr_count:     0
    .args:
      - .address_space:  global
        .offset:         0
        .size:           8
        .value_kind:     global_buffer
      - .address_space:  global
        .offset:         8
        .size:           8
        .value_kind:     global_buffer
      - .offset:         16
        .size:           4
        .value_kind:     by_value
      - .offset:         24
        .size:           4
        .value_kind:     hidden_block_count_x
      - .offset:         28
        .size:           4
        .value_kind:     hidden_block_count_y
      - .offset:         32
        .size:           4
        .value_kind:     hidden_block_count_z
      - .offset:         36
        .size:           2
        .value_kind:     hidden_group_size_x
      - .offset:         38
        .size:           2
        .value_kind:     hidden_group_size_y
      - .offset:         40
        .size:           2
        .value_kind:     hidden_group_size_z
      - .offset:         42
        .size:           2
        .value_kind:     hidden_remainder_x
      - .offset:         44
        .size:           2
        .value_kind:     hidden_remainder_y
      - .offset:         46
        .size:           2
        .value_kind:     hidden_remainder_z
      - .offset:         64
        .size:           8
        .value_kind:     hidden_global_offset_x
      - .offset:         72
        .size:           8
        .value_kind:     hidden_global_offset_y
      - .offset:         80
        .size:           8
        .value_kind:     hidden_global_offset_z
      - .offset:         88
        .size:           2
        .value_kind:     hidden_grid_dims
    .group_segment_fixed_size: 0
    .kernarg_segment_align: 8
    .kernarg_segment_size: 280
    .language:       OpenCL C
    .language_version:
      - 2
      - 0
    .max_flat_workgroup_size: 1024
    .name:           _Z26update_clustered_pnts_maskPcS_i
    .private_segment_fixed_size: 0
    .sgpr_count:     20
    .sgpr_spill_count: 0
    .symbol:         _Z26update_clustered_pnts_maskPcS_i.kd
    .uniform_work_group_size: 1
    .uses_dynamic_stack: false
    .vgpr_count:     11
    .vgpr_spill_count: 0
    .wavefront_size: 64
  - .agpr_count:     32
    .args:
      - .offset:         0
        .size:           4
        .value_kind:     by_value
      - .address_space:  global
        .offset:         8
        .size:           8
        .value_kind:     global_buffer
      - .address_space:  global
        .offset:         16
        .size:           8
        .value_kind:     global_buffer
      - .address_space:  global
        .offset:         24
        .size:           8
        .value_kind:     global_buffer
      - .address_space:  global
        .offset:         32
        .size:           8
        .value_kind:     global_buffer
      - .address_space:  global
        .offset:         40
        .size:           8
        .value_kind:     global_buffer
      - .address_space:  global
        .offset:         48
        .size:           8
        .value_kind:     global_buffer
      - .address_space:  global
        .offset:         56
        .size:           8
        .value_kind:     global_buffer
      - .address_space:  global
        .offset:         64
        .size:           8
        .value_kind:     global_buffer
      - .address_space:  global
        .offset:         72
        .size:           8
        .value_kind:     global_buffer
      - .offset:         80
        .size:           4
        .value_kind:     by_value
      - .offset:         84
        .size:           4
        .value_kind:     by_value
      - .offset:         88
        .size:           4
        .value_kind:     by_value
      - .offset:         92
        .size:           4
        .value_kind:     by_value
      - .offset:         96
        .size:           4
        .value_kind:     hidden_block_count_x
      - .offset:         100
        .size:           4
        .value_kind:     hidden_block_count_y
      - .offset:         104
        .size:           4
        .value_kind:     hidden_block_count_z
      - .offset:         108
        .size:           2
        .value_kind:     hidden_group_size_x
      - .offset:         110
        .size:           2
        .value_kind:     hidden_group_size_y
      - .offset:         112
        .size:           2
        .value_kind:     hidden_group_size_z
      - .offset:         114
        .size:           2
        .value_kind:     hidden_remainder_x
      - .offset:         116
        .size:           2
        .value_kind:     hidden_remainder_y
      - .offset:         118
        .size:           2
        .value_kind:     hidden_remainder_z
      - .offset:         136
        .size:           8
        .value_kind:     hidden_global_offset_x
      - .offset:         144
        .size:           8
        .value_kind:     hidden_global_offset_y
      - .offset:         152
        .size:           8
        .value_kind:     hidden_global_offset_z
      - .offset:         160
        .size:           2
        .value_kind:     hidden_grid_dims
      - .offset:         176
        .size:           8
        .value_kind:     hidden_hostcall_buffer
      - .offset:         184
        .size:           8
        .value_kind:     hidden_multigrid_sync_arg
      - .offset:         192
        .size:           8
        .value_kind:     hidden_heap_v1
      - .offset:         200
        .size:           8
        .value_kind:     hidden_default_queue
      - .offset:         208
        .size:           8
        .value_kind:     hidden_completion_action
      - .offset:         296
        .size:           8
        .value_kind:     hidden_queue_ptr
    .group_segment_fixed_size: 776
    .kernarg_segment_align: 8
    .kernarg_segment_size: 352
    .language:       OpenCL C
    .language_version:
      - 2
      - 0
    .max_flat_workgroup_size: 1024
    .name:           _Z30trim_ungrouped_pnts_indr_arrayiPiPfS_PcS1_S_S_S0_S_iiif
    .private_segment_fixed_size: 16
    .sgpr_count:     88
    .sgpr_spill_count: 0
    .symbol:         _Z30trim_ungrouped_pnts_indr_arrayiPiPfS_PcS1_S_S_S0_S_iiif.kd
    .uniform_work_group_size: 1
    .uses_dynamic_stack: false
    .vgpr_count:     96
    .vgpr_spill_count: 0
    .wavefront_size: 64
  - .agpr_count:     32
    .args:
      - .address_space:  global
        .offset:         0
        .size:           8
        .value_kind:     global_buffer
      - .address_space:  global
        .offset:         8
        .size:           8
        .value_kind:     global_buffer
      - .address_space:  global
        .offset:         16
        .size:           8
        .value_kind:     global_buffer
      - .address_space:  global
        .offset:         24
        .size:           8
        .value_kind:     global_buffer
      - .address_space:  global
        .offset:         32
        .size:           8
        .value_kind:     global_buffer
      - .address_space:  global
        .offset:         40
        .size:           8
        .value_kind:     global_buffer
      - .address_space:  global
        .offset:         48
        .size:           8
        .value_kind:     global_buffer
      - .address_space:  global
        .offset:         56
        .size:           8
        .value_kind:     global_buffer
      - .offset:         64
        .size:           4
        .value_kind:     by_value
      - .offset:         68
        .size:           4
        .value_kind:     by_value
      - .offset:         72
        .size:           4
        .value_kind:     by_value
      - .offset:         76
        .size:           4
        .value_kind:     by_value
      - .offset:         80
        .size:           4
        .value_kind:     by_value
      - .offset:         84
        .size:           4
        .value_kind:     by_value
      - .offset:         88
        .size:           4
        .value_kind:     by_value
      - .offset:         96
        .size:           4
        .value_kind:     hidden_block_count_x
      - .offset:         100
        .size:           4
        .value_kind:     hidden_block_count_y
      - .offset:         104
        .size:           4
        .value_kind:     hidden_block_count_z
      - .offset:         108
        .size:           2
        .value_kind:     hidden_group_size_x
      - .offset:         110
        .size:           2
        .value_kind:     hidden_group_size_y
      - .offset:         112
        .size:           2
        .value_kind:     hidden_group_size_z
      - .offset:         114
        .size:           2
        .value_kind:     hidden_remainder_x
      - .offset:         116
        .size:           2
        .value_kind:     hidden_remainder_y
      - .offset:         118
        .size:           2
        .value_kind:     hidden_remainder_z
      - .offset:         136
        .size:           8
        .value_kind:     hidden_global_offset_x
      - .offset:         144
        .size:           8
        .value_kind:     hidden_global_offset_y
      - .offset:         152
        .size:           8
        .value_kind:     hidden_global_offset_z
      - .offset:         160
        .size:           2
        .value_kind:     hidden_grid_dims
      - .offset:         176
        .size:           8
        .value_kind:     hidden_hostcall_buffer
      - .offset:         184
        .size:           8
        .value_kind:     hidden_multigrid_sync_arg
      - .offset:         192
        .size:           8
        .value_kind:     hidden_heap_v1
      - .offset:         200
        .size:           8
        .value_kind:     hidden_default_queue
      - .offset:         208
        .size:           8
        .value_kind:     hidden_completion_action
      - .offset:         296
        .size:           8
        .value_kind:     hidden_queue_ptr
    .group_segment_fixed_size: 512
    .kernarg_segment_align: 8
    .kernarg_segment_size: 352
    .language:       OpenCL C
    .language_version:
      - 2
      - 0
    .max_flat_workgroup_size: 1024
    .name:           _Z10QTC_devicePfPcS0_PiS1_S1_S_S1_iiifiii
    .private_segment_fixed_size: 16
    .sgpr_count:     105
    .sgpr_spill_count: 0
    .symbol:         _Z10QTC_devicePfPcS0_PiS1_S1_S_S1_iiifiii.kd
    .uniform_work_group_size: 1
    .uses_dynamic_stack: false
    .vgpr_count:     96
    .vgpr_spill_count: 0
    .wavefront_size: 64
amdhsa.target:   amdgcn-amd-amdhsa--gfx90a
amdhsa.version:
  - 1
  - 2
...

	.end_amdgpu_metadata
